;; amdgpu-corpus repo=ROCm/rocFFT kind=compiled arch=gfx906 opt=O3
	.text
	.amdgcn_target "amdgcn-amd-amdhsa--gfx906"
	.amdhsa_code_object_version 6
	.protected	fft_rtc_back_len2160_factors_10_6_6_6_wgs_60_tpt_60_halfLds_dp_op_CI_CI_sbrr_dirReg ; -- Begin function fft_rtc_back_len2160_factors_10_6_6_6_wgs_60_tpt_60_halfLds_dp_op_CI_CI_sbrr_dirReg
	.globl	fft_rtc_back_len2160_factors_10_6_6_6_wgs_60_tpt_60_halfLds_dp_op_CI_CI_sbrr_dirReg
	.p2align	8
	.type	fft_rtc_back_len2160_factors_10_6_6_6_wgs_60_tpt_60_halfLds_dp_op_CI_CI_sbrr_dirReg,@function
fft_rtc_back_len2160_factors_10_6_6_6_wgs_60_tpt_60_halfLds_dp_op_CI_CI_sbrr_dirReg: ; @fft_rtc_back_len2160_factors_10_6_6_6_wgs_60_tpt_60_halfLds_dp_op_CI_CI_sbrr_dirReg
; %bb.0:
	s_load_dwordx4 s[16:19], s[4:5], 0x18
	s_load_dwordx4 s[12:15], s[4:5], 0x0
	;; [unrolled: 1-line block ×3, first 2 shown]
	s_mov_b64 s[38:39], s[2:3]
	s_mov_b64 s[36:37], s[0:1]
	s_waitcnt lgkmcnt(0)
	s_load_dwordx2 s[20:21], s[16:17], 0x0
	s_load_dwordx2 s[2:3], s[18:19], 0x0
	v_mul_u32_u24_e32 v1, 0x445, v0
	v_cmp_lt_u64_e64 s[0:1], s[14:15], 2
	s_add_u32 s36, s36, s7
	v_add_u32_sdwa v6, s6, v1 dst_sel:DWORD dst_unused:UNUSED_PAD src0_sel:DWORD src1_sel:WORD_1
	v_mov_b32_e32 v1, 0
	v_mov_b32_e32 v4, 0
	s_addc_u32 s37, s37, 0
	v_mov_b32_e32 v7, v1
	s_and_b64 vcc, exec, s[0:1]
	v_mov_b32_e32 v5, 0
	s_cbranch_vccnz .LBB0_8
; %bb.1:
	s_load_dwordx2 s[0:1], s[4:5], 0x10
	s_add_u32 s6, s18, 8
	s_addc_u32 s7, s19, 0
	s_add_u32 s22, s16, 8
	v_mov_b32_e32 v4, 0
	s_addc_u32 s23, s17, 0
	v_mov_b32_e32 v5, 0
	s_waitcnt lgkmcnt(0)
	s_add_u32 s24, s0, 8
	v_mov_b32_e32 v161, v5
	s_addc_u32 s25, s1, 0
	s_mov_b64 s[26:27], 1
	v_mov_b32_e32 v160, v4
.LBB0_2:                                ; =>This Inner Loop Header: Depth=1
	s_load_dwordx2 s[28:29], s[24:25], 0x0
                                        ; implicit-def: $vgpr162_vgpr163
	s_waitcnt lgkmcnt(0)
	v_or_b32_e32 v2, s29, v7
	v_cmp_ne_u64_e32 vcc, 0, v[1:2]
	s_and_saveexec_b64 s[0:1], vcc
	s_xor_b64 s[30:31], exec, s[0:1]
	s_cbranch_execz .LBB0_4
; %bb.3:                                ;   in Loop: Header=BB0_2 Depth=1
	v_cvt_f32_u32_e32 v2, s28
	v_cvt_f32_u32_e32 v3, s29
	s_sub_u32 s0, 0, s28
	s_subb_u32 s1, 0, s29
	v_mac_f32_e32 v2, 0x4f800000, v3
	v_rcp_f32_e32 v2, v2
	v_mul_f32_e32 v2, 0x5f7ffffc, v2
	v_mul_f32_e32 v3, 0x2f800000, v2
	v_trunc_f32_e32 v3, v3
	v_mac_f32_e32 v2, 0xcf800000, v3
	v_cvt_u32_f32_e32 v3, v3
	v_cvt_u32_f32_e32 v2, v2
	v_mul_lo_u32 v8, s0, v3
	v_mul_hi_u32 v9, s0, v2
	v_mul_lo_u32 v11, s1, v2
	v_mul_lo_u32 v10, s0, v2
	v_add_u32_e32 v8, v9, v8
	v_add_u32_e32 v8, v8, v11
	v_mul_hi_u32 v9, v2, v10
	v_mul_lo_u32 v11, v2, v8
	v_mul_hi_u32 v13, v2, v8
	v_mul_hi_u32 v12, v3, v10
	v_mul_lo_u32 v10, v3, v10
	v_mul_hi_u32 v14, v3, v8
	v_add_co_u32_e32 v9, vcc, v9, v11
	v_addc_co_u32_e32 v11, vcc, 0, v13, vcc
	v_mul_lo_u32 v8, v3, v8
	v_add_co_u32_e32 v9, vcc, v9, v10
	v_addc_co_u32_e32 v9, vcc, v11, v12, vcc
	v_addc_co_u32_e32 v10, vcc, 0, v14, vcc
	v_add_co_u32_e32 v8, vcc, v9, v8
	v_addc_co_u32_e32 v9, vcc, 0, v10, vcc
	v_add_co_u32_e32 v2, vcc, v2, v8
	v_addc_co_u32_e32 v3, vcc, v3, v9, vcc
	v_mul_lo_u32 v8, s0, v3
	v_mul_hi_u32 v9, s0, v2
	v_mul_lo_u32 v10, s1, v2
	v_mul_lo_u32 v11, s0, v2
	v_add_u32_e32 v8, v9, v8
	v_add_u32_e32 v8, v8, v10
	v_mul_lo_u32 v12, v2, v8
	v_mul_hi_u32 v13, v2, v11
	v_mul_hi_u32 v14, v2, v8
	;; [unrolled: 1-line block ×3, first 2 shown]
	v_mul_lo_u32 v11, v3, v11
	v_mul_hi_u32 v9, v3, v8
	v_add_co_u32_e32 v12, vcc, v13, v12
	v_addc_co_u32_e32 v13, vcc, 0, v14, vcc
	v_mul_lo_u32 v8, v3, v8
	v_add_co_u32_e32 v11, vcc, v12, v11
	v_addc_co_u32_e32 v10, vcc, v13, v10, vcc
	v_addc_co_u32_e32 v9, vcc, 0, v9, vcc
	v_add_co_u32_e32 v8, vcc, v10, v8
	v_addc_co_u32_e32 v9, vcc, 0, v9, vcc
	v_add_co_u32_e32 v8, vcc, v2, v8
	v_addc_co_u32_e32 v9, vcc, v3, v9, vcc
	v_mad_u64_u32 v[2:3], s[0:1], v6, v9, 0
	v_mul_hi_u32 v10, v6, v8
	v_add_co_u32_e32 v10, vcc, v10, v2
	v_addc_co_u32_e32 v11, vcc, 0, v3, vcc
	v_mad_u64_u32 v[2:3], s[0:1], v7, v8, 0
	v_mad_u64_u32 v[8:9], s[0:1], v7, v9, 0
	v_add_co_u32_e32 v2, vcc, v10, v2
	v_addc_co_u32_e32 v2, vcc, v11, v3, vcc
	v_addc_co_u32_e32 v3, vcc, 0, v9, vcc
	v_add_co_u32_e32 v8, vcc, v2, v8
	v_addc_co_u32_e32 v9, vcc, 0, v3, vcc
	v_mul_lo_u32 v10, s29, v8
	v_mul_lo_u32 v11, s28, v9
	v_mad_u64_u32 v[2:3], s[0:1], s28, v8, 0
	v_add3_u32 v3, v3, v11, v10
	v_sub_u32_e32 v10, v7, v3
	v_mov_b32_e32 v11, s29
	v_sub_co_u32_e32 v2, vcc, v6, v2
	v_subb_co_u32_e64 v10, s[0:1], v10, v11, vcc
	v_subrev_co_u32_e64 v11, s[0:1], s28, v2
	v_subbrev_co_u32_e64 v10, s[0:1], 0, v10, s[0:1]
	v_cmp_le_u32_e64 s[0:1], s29, v10
	v_cndmask_b32_e64 v12, 0, -1, s[0:1]
	v_cmp_le_u32_e64 s[0:1], s28, v11
	v_cndmask_b32_e64 v11, 0, -1, s[0:1]
	v_cmp_eq_u32_e64 s[0:1], s29, v10
	v_cndmask_b32_e64 v10, v12, v11, s[0:1]
	v_add_co_u32_e64 v11, s[0:1], 2, v8
	v_addc_co_u32_e64 v12, s[0:1], 0, v9, s[0:1]
	v_add_co_u32_e64 v13, s[0:1], 1, v8
	v_addc_co_u32_e64 v14, s[0:1], 0, v9, s[0:1]
	v_subb_co_u32_e32 v3, vcc, v7, v3, vcc
	v_cmp_ne_u32_e64 s[0:1], 0, v10
	v_cmp_le_u32_e32 vcc, s29, v3
	v_cndmask_b32_e64 v10, v14, v12, s[0:1]
	v_cndmask_b32_e64 v12, 0, -1, vcc
	v_cmp_le_u32_e32 vcc, s28, v2
	v_cndmask_b32_e64 v2, 0, -1, vcc
	v_cmp_eq_u32_e32 vcc, s29, v3
	v_cndmask_b32_e32 v2, v12, v2, vcc
	v_cmp_ne_u32_e32 vcc, 0, v2
	v_cndmask_b32_e64 v2, v13, v11, s[0:1]
	v_cndmask_b32_e32 v163, v9, v10, vcc
	v_cndmask_b32_e32 v162, v8, v2, vcc
.LBB0_4:                                ;   in Loop: Header=BB0_2 Depth=1
	s_andn2_saveexec_b64 s[0:1], s[30:31]
	s_cbranch_execz .LBB0_6
; %bb.5:                                ;   in Loop: Header=BB0_2 Depth=1
	v_cvt_f32_u32_e32 v2, s28
	s_sub_i32 s30, 0, s28
	v_mov_b32_e32 v163, v1
	v_rcp_iflag_f32_e32 v2, v2
	v_mul_f32_e32 v2, 0x4f7ffffe, v2
	v_cvt_u32_f32_e32 v2, v2
	v_mul_lo_u32 v3, s30, v2
	v_mul_hi_u32 v3, v2, v3
	v_add_u32_e32 v2, v2, v3
	v_mul_hi_u32 v2, v6, v2
	v_mul_lo_u32 v3, v2, s28
	v_add_u32_e32 v8, 1, v2
	v_sub_u32_e32 v3, v6, v3
	v_subrev_u32_e32 v9, s28, v3
	v_cmp_le_u32_e32 vcc, s28, v3
	v_cndmask_b32_e32 v3, v3, v9, vcc
	v_cndmask_b32_e32 v2, v2, v8, vcc
	v_add_u32_e32 v8, 1, v2
	v_cmp_le_u32_e32 vcc, s28, v3
	v_cndmask_b32_e32 v162, v2, v8, vcc
.LBB0_6:                                ;   in Loop: Header=BB0_2 Depth=1
	s_or_b64 exec, exec, s[0:1]
	v_mul_lo_u32 v8, v163, s28
	v_mul_lo_u32 v9, v162, s29
	v_mad_u64_u32 v[2:3], s[0:1], v162, s28, 0
	s_load_dwordx2 s[0:1], s[22:23], 0x0
	s_load_dwordx2 s[28:29], s[6:7], 0x0
	v_add3_u32 v3, v3, v9, v8
	v_sub_co_u32_e32 v2, vcc, v6, v2
	v_subb_co_u32_e32 v3, vcc, v7, v3, vcc
	s_waitcnt lgkmcnt(0)
	v_mul_lo_u32 v6, s0, v3
	v_mul_lo_u32 v7, s1, v2
	v_mad_u64_u32 v[4:5], s[0:1], s0, v2, v[4:5]
	v_mul_lo_u32 v3, s28, v3
	v_mul_lo_u32 v8, s29, v2
	v_mad_u64_u32 v[160:161], s[0:1], s28, v2, v[160:161]
	s_add_u32 s26, s26, 1
	s_addc_u32 s27, s27, 0
	s_add_u32 s6, s6, 8
	v_add3_u32 v161, v8, v161, v3
	s_addc_u32 s7, s7, 0
	v_mov_b32_e32 v2, s14
	s_add_u32 s22, s22, 8
	v_mov_b32_e32 v3, s15
	s_addc_u32 s23, s23, 0
	v_cmp_ge_u64_e32 vcc, s[26:27], v[2:3]
	s_add_u32 s24, s24, 8
	v_add3_u32 v5, v7, v5, v6
	s_addc_u32 s25, s25, 0
	s_cbranch_vccnz .LBB0_9
; %bb.7:                                ;   in Loop: Header=BB0_2 Depth=1
	v_mov_b32_e32 v6, v162
	v_mov_b32_e32 v7, v163
	s_branch .LBB0_2
.LBB0_8:
	v_mov_b32_e32 v161, v5
	v_mov_b32_e32 v163, v7
	;; [unrolled: 1-line block ×4, first 2 shown]
.LBB0_9:
	s_load_dwordx2 s[0:1], s[4:5], 0x28
	s_lshl_b64 s[14:15], s[14:15], 3
	s_add_u32 s4, s18, s14
	s_addc_u32 s5, s19, s15
                                        ; implicit-def: $vgpr192
                                        ; implicit-def: $vgpr193
                                        ; implicit-def: $vgpr194
	s_waitcnt lgkmcnt(0)
	v_cmp_gt_u64_e32 vcc, s[0:1], v[162:163]
	v_cmp_le_u64_e64 s[0:1], s[0:1], v[162:163]
	s_and_saveexec_b64 s[6:7], s[0:1]
	s_xor_b64 s[0:1], exec, s[6:7]
; %bb.10:
	s_mov_b32 s6, 0x4444445
	v_mul_hi_u32 v1, v0, s6
                                        ; implicit-def: $vgpr4_vgpr5
	v_mul_u32_u24_e32 v1, 60, v1
	v_sub_u32_e32 v192, v0, v1
	v_add_u32_e32 v193, 60, v192
	v_add_u32_e32 v194, 0x78, v192
                                        ; implicit-def: $vgpr0
; %bb.11:
	s_or_saveexec_b64 s[6:7], s[0:1]
	s_load_dwordx2 s[4:5], s[4:5], 0x0
                                        ; implicit-def: $vgpr118_vgpr119
                                        ; implicit-def: $vgpr154_vgpr155
                                        ; implicit-def: $vgpr122_vgpr123
                                        ; implicit-def: $vgpr134_vgpr135
                                        ; implicit-def: $vgpr106_vgpr107
                                        ; implicit-def: $vgpr110_vgpr111
                                        ; implicit-def: $vgpr94_vgpr95
                                        ; implicit-def: $vgpr98_vgpr99
                                        ; implicit-def: $vgpr66_vgpr67
                                        ; implicit-def: $vgpr70_vgpr71
                                        ; implicit-def: $vgpr114_vgpr115
                                        ; implicit-def: $vgpr150_vgpr151
                                        ; implicit-def: $vgpr142_vgpr143
                                        ; implicit-def: $vgpr158_vgpr159
                                        ; implicit-def: $vgpr146_vgpr147
                                        ; implicit-def: $vgpr138_vgpr139
                                        ; implicit-def: $vgpr130_vgpr131
                                        ; implicit-def: $vgpr126_vgpr127
                                        ; implicit-def: $vgpr74_vgpr75
                                        ; implicit-def: $vgpr86_vgpr87
                                        ; implicit-def: $vgpr78_vgpr79
                                        ; implicit-def: $vgpr102_vgpr103
                                        ; implicit-def: $vgpr82_vgpr83
                                        ; implicit-def: $vgpr90_vgpr91
                                        ; implicit-def: $vgpr58_vgpr59
                                        ; implicit-def: $vgpr62_vgpr63
                                        ; implicit-def: $vgpr54_vgpr55
                                        ; implicit-def: $vgpr50_vgpr51
                                        ; implicit-def: $vgpr26_vgpr27
                                        ; implicit-def: $vgpr38_vgpr39
                                        ; implicit-def: $vgpr42_vgpr43
                                        ; implicit-def: $vgpr46_vgpr47
                                        ; implicit-def: $vgpr30_vgpr31
                                        ; implicit-def: $vgpr34_vgpr35
                                        ; implicit-def: $vgpr18_vgpr19
                                        ; implicit-def: $vgpr22_vgpr23
                                        ; implicit-def: $vgpr10_vgpr11
                                        ; implicit-def: $vgpr14_vgpr15
                                        ; implicit-def: $vgpr2_vgpr3
                                        ; implicit-def: $vgpr6_vgpr7
	s_xor_b64 exec, exec, s[6:7]
	s_cbranch_execz .LBB0_15
; %bb.12:
	s_add_u32 s0, s16, s14
	s_mov_b32 s14, 0x4444445
	s_addc_u32 s1, s17, s15
	v_mul_hi_u32 v1, v0, s14
	s_load_dwordx2 s[0:1], s[0:1], 0x0
                                        ; implicit-def: $vgpr108_vgpr109
                                        ; implicit-def: $vgpr132_vgpr133
                                        ; implicit-def: $vgpr120_vgpr121
                                        ; implicit-def: $vgpr152_vgpr153
                                        ; implicit-def: $vgpr116_vgpr117
	v_mul_u32_u24_e32 v1, 60, v1
	v_sub_u32_e32 v192, v0, v1
	s_waitcnt lgkmcnt(0)
	v_mul_lo_u32 v8, s1, v162
	v_mad_u64_u32 v[0:1], s[14:15], s20, v192, 0
	v_mul_lo_u32 v9, s0, v163
	v_mad_u64_u32 v[2:3], s[0:1], s0, v162, 0
	v_add_u32_e32 v17, 0x288, v192
	v_add_u32_e32 v26, 0x438, v192
	v_mad_u64_u32 v[6:7], s[0:1], s21, v192, v[1:2]
	v_add3_u32 v3, v3, v9, v8
	v_lshlrev_b64 v[2:3], 4, v[2:3]
	v_mov_b32_e32 v1, v6
	v_mov_b32_e32 v6, s9
	v_add_co_u32_e64 v7, s[0:1], s8, v2
	v_add_u32_e32 v8, 0xd8, v192
	v_addc_co_u32_e64 v6, s[0:1], v6, v3, s[0:1]
	v_lshlrev_b64 v[2:3], 4, v[4:5]
	v_mad_u64_u32 v[4:5], s[0:1], s20, v8, 0
	v_add_co_u32_e64 v118, s[0:1], v7, v2
	v_mov_b32_e32 v2, v5
	v_addc_co_u32_e64 v119, s[0:1], v6, v3, s[0:1]
	v_mad_u64_u32 v[2:3], s[0:1], s21, v8, v[2:3]
	v_lshlrev_b64 v[0:1], 4, v[0:1]
	v_add_u32_e32 v33, 0x5e8, v192
	v_add_co_u32_e64 v8, s[0:1], v118, v0
	v_mov_b32_e32 v5, v2
	v_add_u32_e32 v2, 0x1b0, v192
	v_addc_co_u32_e64 v9, s[0:1], v119, v1, s[0:1]
	v_mad_u64_u32 v[10:11], s[0:1], s20, v2, 0
	v_lshlrev_b64 v[0:1], 4, v[4:5]
	v_add_u32_e32 v40, 0x798, v192
	v_add_co_u32_e64 v12, s[0:1], v118, v0
	v_mov_b32_e32 v0, v11
	v_addc_co_u32_e64 v13, s[0:1], v119, v1, s[0:1]
	v_mad_u64_u32 v[14:15], s[0:1], s21, v2, v[0:1]
	v_mad_u64_u32 v[15:16], s[0:1], s20, v17, 0
	v_mov_b32_e32 v11, v14
	global_load_dwordx4 v[4:7], v[8:9], off
	global_load_dwordx4 v[0:3], v[12:13], off
	v_lshlrev_b64 v[8:9], 4, v[10:11]
	v_mov_b32_e32 v10, v16
	v_mad_u64_u32 v[10:11], s[0:1], s21, v17, v[10:11]
	v_add_co_u32_e64 v17, s[0:1], v118, v8
	v_mov_b32_e32 v16, v10
	v_add_u32_e32 v10, 0x360, v192
	v_addc_co_u32_e64 v18, s[0:1], v119, v9, s[0:1]
	v_mad_u64_u32 v[19:20], s[0:1], s20, v10, 0
	v_lshlrev_b64 v[8:9], 4, v[15:16]
	v_add_u32_e32 v193, 60, v192
	v_add_co_u32_e64 v21, s[0:1], v118, v8
	v_mov_b32_e32 v8, v20
	v_addc_co_u32_e64 v22, s[0:1], v119, v9, s[0:1]
	v_mad_u64_u32 v[23:24], s[0:1], s21, v10, v[8:9]
	v_mad_u64_u32 v[24:25], s[0:1], s20, v26, 0
	global_load_dwordx4 v[12:15], v[17:18], off
	global_load_dwordx4 v[8:11], v[21:22], off
	v_mov_b32_e32 v20, v23
	v_mov_b32_e32 v18, v25
	v_lshlrev_b64 v[16:17], 4, v[19:20]
	v_mad_u64_u32 v[18:19], s[0:1], s21, v26, v[18:19]
	v_add_co_u32_e64 v26, s[0:1], v118, v16
	v_mov_b32_e32 v25, v18
	v_add_u32_e32 v18, 0x510, v192
	v_addc_co_u32_e64 v27, s[0:1], v119, v17, s[0:1]
	v_lshlrev_b64 v[16:17], 4, v[24:25]
	v_mad_u64_u32 v[24:25], s[0:1], s20, v18, 0
	v_add_co_u32_e64 v28, s[0:1], v118, v16
	v_mov_b32_e32 v16, v25
	v_addc_co_u32_e64 v29, s[0:1], v119, v17, s[0:1]
	v_mad_u64_u32 v[30:31], s[0:1], s21, v18, v[16:17]
	v_mad_u64_u32 v[31:32], s[0:1], s20, v33, 0
	global_load_dwordx4 v[20:23], v[26:27], off
	global_load_dwordx4 v[16:19], v[28:29], off
	v_mov_b32_e32 v25, v30
	v_mov_b32_e32 v26, v32
	v_lshlrev_b64 v[24:25], 4, v[24:25]
	v_mad_u64_u32 v[26:27], s[0:1], s21, v33, v[26:27]
	v_add_co_u32_e64 v24, s[0:1], v118, v24
	v_or_b32_e32 v29, 0x6c0, v192
	v_addc_co_u32_e64 v25, s[0:1], v119, v25, s[0:1]
	v_mad_u64_u32 v[36:37], s[0:1], s20, v29, 0
	v_mov_b32_e32 v32, v26
	v_lshlrev_b64 v[26:27], 4, v[31:32]
	v_mov_b32_e32 v28, v37
	v_add_co_u32_e64 v26, s[0:1], v118, v26
	v_addc_co_u32_e64 v27, s[0:1], v119, v27, s[0:1]
	v_mad_u64_u32 v[37:38], s[0:1], s21, v29, v[28:29]
	v_mad_u64_u32 v[38:39], s[0:1], s20, v40, 0
	global_load_dwordx4 v[32:35], v[24:25], off
	global_load_dwordx4 v[28:31], v[26:27], off
	v_lshlrev_b64 v[24:25], 4, v[36:37]
	v_mov_b32_e32 v26, v39
	v_mad_u64_u32 v[26:27], s[0:1], s21, v40, v[26:27]
	v_add_co_u32_e64 v24, s[0:1], v118, v24
	v_addc_co_u32_e64 v25, s[0:1], v119, v25, s[0:1]
	v_mov_b32_e32 v39, v26
	v_mad_u64_u32 v[36:37], s[0:1], s20, v193, 0
	v_lshlrev_b64 v[26:27], 4, v[38:39]
	v_add_u32_e32 v48, 0x114, v192
	v_add_co_u32_e64 v26, s[0:1], v118, v26
	v_addc_co_u32_e64 v27, s[0:1], v119, v27, s[0:1]
	v_mad_u64_u32 v[37:38], s[0:1], s21, v193, v[37:38]
	v_mad_u64_u32 v[38:39], s[0:1], s20, v48, 0
	global_load_dwordx4 v[44:47], v[24:25], off
	global_load_dwordx4 v[40:43], v[26:27], off
	v_lshlrev_b64 v[24:25], 4, v[36:37]
	v_mov_b32_e32 v26, v39
	v_mad_u64_u32 v[26:27], s[0:1], s21, v48, v[26:27]
	v_add_co_u32_e64 v48, s[0:1], v118, v24
	v_mov_b32_e32 v39, v26
	v_add_u32_e32 v26, 0x1ec, v192
	v_addc_co_u32_e64 v49, s[0:1], v119, v25, s[0:1]
	v_mad_u64_u32 v[50:51], s[0:1], s20, v26, 0
	v_lshlrev_b64 v[24:25], 4, v[38:39]
	v_add_u32_e32 v57, 0x2c4, v192
	v_add_co_u32_e64 v52, s[0:1], v118, v24
	v_mov_b32_e32 v24, v51
	v_addc_co_u32_e64 v53, s[0:1], v119, v25, s[0:1]
	v_mad_u64_u32 v[54:55], s[0:1], s21, v26, v[24:25]
	v_mad_u64_u32 v[55:56], s[0:1], s20, v57, 0
	v_mov_b32_e32 v51, v54
	global_load_dwordx4 v[36:39], v[48:49], off
	global_load_dwordx4 v[24:27], v[52:53], off
	v_lshlrev_b64 v[48:49], 4, v[50:51]
	v_mov_b32_e32 v50, v56
	v_mad_u64_u32 v[50:51], s[0:1], s21, v57, v[50:51]
	v_add_co_u32_e64 v57, s[0:1], v118, v48
	v_mov_b32_e32 v56, v50
	v_add_u32_e32 v50, 0x39c, v192
	v_addc_co_u32_e64 v58, s[0:1], v119, v49, s[0:1]
	v_mad_u64_u32 v[59:60], s[0:1], s20, v50, 0
	v_lshlrev_b64 v[48:49], 4, v[55:56]
	v_add_u32_e32 v66, 0x474, v192
	v_add_co_u32_e64 v61, s[0:1], v118, v48
	v_mov_b32_e32 v48, v60
	v_addc_co_u32_e64 v62, s[0:1], v119, v49, s[0:1]
	v_mad_u64_u32 v[63:64], s[0:1], s21, v50, v[48:49]
	v_mad_u64_u32 v[64:65], s[0:1], s20, v66, 0
	global_load_dwordx4 v[48:51], v[57:58], off
	global_load_dwordx4 v[52:55], v[61:62], off
	v_mov_b32_e32 v60, v63
	v_mov_b32_e32 v58, v65
	v_lshlrev_b64 v[56:57], 4, v[59:60]
	v_mad_u64_u32 v[58:59], s[0:1], s21, v66, v[58:59]
	v_add_co_u32_e64 v66, s[0:1], v118, v56
	v_mov_b32_e32 v65, v58
	v_add_u32_e32 v58, 0x54c, v192
	v_addc_co_u32_e64 v67, s[0:1], v119, v57, s[0:1]
	v_lshlrev_b64 v[56:57], 4, v[64:65]
	v_mad_u64_u32 v[64:65], s[0:1], s20, v58, 0
	v_add_co_u32_e64 v68, s[0:1], v118, v56
	v_mov_b32_e32 v56, v65
	v_addc_co_u32_e64 v69, s[0:1], v119, v57, s[0:1]
	v_mad_u64_u32 v[70:71], s[0:1], s21, v58, v[56:57]
	v_add_u32_e32 v73, 0x624, v192
	v_mad_u64_u32 v[71:72], s[0:1], s20, v73, 0
	global_load_dwordx4 v[60:63], v[66:67], off
	global_load_dwordx4 v[56:59], v[68:69], off
	v_mov_b32_e32 v65, v70
	v_mov_b32_e32 v66, v72
	v_mad_u64_u32 v[66:67], s[0:1], s21, v73, v[66:67]
	v_lshlrev_b64 v[64:65], 4, v[64:65]
	v_add_u32_e32 v70, 0x6fc, v192
	v_add_co_u32_e64 v64, s[0:1], v118, v64
	v_addc_co_u32_e64 v65, s[0:1], v119, v65, s[0:1]
	v_mov_b32_e32 v72, v66
	v_mad_u64_u32 v[68:69], s[0:1], s20, v70, 0
	v_lshlrev_b64 v[66:67], 4, v[71:72]
	v_add_u32_e32 v72, 0x7d4, v192
	v_add_co_u32_e64 v66, s[0:1], v118, v66
	v_addc_co_u32_e64 v67, s[0:1], v119, v67, s[0:1]
	v_mad_u64_u32 v[69:70], s[0:1], s21, v70, v[69:70]
	v_mad_u64_u32 v[70:71], s[0:1], s20, v72, 0
	global_load_dwordx4 v[88:91], v[64:65], off
	global_load_dwordx4 v[80:83], v[66:67], off
	v_lshlrev_b64 v[64:65], 4, v[68:69]
	v_mov_b32_e32 v66, v71
	v_mad_u64_u32 v[66:67], s[0:1], s21, v72, v[66:67]
	v_add_co_u32_e64 v64, s[0:1], v118, v64
	v_add_u32_e32 v194, 0x78, v192
	v_addc_co_u32_e64 v65, s[0:1], v119, v65, s[0:1]
	v_mov_b32_e32 v71, v66
	v_mad_u64_u32 v[68:69], s[0:1], s20, v194, 0
	v_lshlrev_b64 v[66:67], 4, v[70:71]
	v_add_u32_e32 v72, 0x150, v192
	v_add_co_u32_e64 v66, s[0:1], v118, v66
	v_addc_co_u32_e64 v67, s[0:1], v119, v67, s[0:1]
	v_mad_u64_u32 v[69:70], s[0:1], s21, v194, v[69:70]
	v_mad_u64_u32 v[70:71], s[0:1], s20, v72, 0
	global_load_dwordx4 v[100:103], v[64:65], off
	global_load_dwordx4 v[76:79], v[66:67], off
	v_lshlrev_b64 v[64:65], 4, v[68:69]
	v_mov_b32_e32 v66, v71
	v_mad_u64_u32 v[66:67], s[0:1], s21, v72, v[66:67]
	v_add_co_u32_e64 v64, s[0:1], v118, v64
	v_mov_b32_e32 v71, v66
	v_lshlrev_b64 v[66:67], 4, v[70:71]
	v_add_u32_e32 v70, 0x228, v192
	v_addc_co_u32_e64 v65, s[0:1], v119, v65, s[0:1]
	v_mad_u64_u32 v[68:69], s[0:1], s20, v70, 0
	v_add_co_u32_e64 v66, s[0:1], v118, v66
	v_addc_co_u32_e64 v67, s[0:1], v119, v67, s[0:1]
	v_mad_u64_u32 v[69:70], s[0:1], s21, v70, v[69:70]
	v_or_b32_e32 v92, 0x300, v192
	v_mad_u64_u32 v[70:71], s[0:1], s20, v92, 0
	global_load_dwordx4 v[84:87], v[64:65], off
	global_load_dwordx4 v[72:75], v[66:67], off
	v_lshlrev_b64 v[64:65], 4, v[68:69]
	v_mov_b32_e32 v66, v71
	v_mad_u64_u32 v[66:67], s[0:1], s21, v92, v[66:67]
	v_add_u32_e32 v92, 0x3d8, v192
	v_mad_u64_u32 v[67:68], s[0:1], s20, v92, 0
	v_add_co_u32_e64 v64, s[0:1], v118, v64
	v_mov_b32_e32 v71, v66
	v_mov_b32_e32 v66, v68
	v_addc_co_u32_e64 v65, s[0:1], v119, v65, s[0:1]
	v_lshlrev_b64 v[69:70], 4, v[70:71]
	v_mad_u64_u32 v[92:93], s[0:1], s21, v92, v[66:67]
	v_add_u32_e32 v71, 0x4b0, v192
	v_mad_u64_u32 v[93:94], s[0:1], s20, v71, 0
	v_mov_b32_e32 v68, v92
	v_add_co_u32_e64 v69, s[0:1], v118, v69
	v_lshlrev_b64 v[66:67], 4, v[67:68]
	v_mov_b32_e32 v68, v94
	v_addc_co_u32_e64 v70, s[0:1], v119, v70, s[0:1]
	v_mad_u64_u32 v[94:95], s[0:1], s21, v71, v[68:69]
	v_add_u32_e32 v71, 0x588, v192
	v_mad_u64_u32 v[95:96], s[0:1], s20, v71, 0
	v_add_co_u32_e64 v66, s[0:1], v118, v66
	v_mov_b32_e32 v68, v96
	v_addc_co_u32_e64 v67, s[0:1], v119, v67, s[0:1]
	v_mad_u64_u32 v[96:97], s[0:1], s21, v71, v[68:69]
	v_add_u32_e32 v71, 0x660, v192
	v_mad_u64_u32 v[97:98], s[0:1], s20, v71, 0
	v_lshlrev_b64 v[92:93], 4, v[93:94]
	v_lshlrev_b64 v[94:95], 4, v[95:96]
	v_add_co_u32_e64 v92, s[0:1], v118, v92
	v_mov_b32_e32 v68, v98
	v_addc_co_u32_e64 v93, s[0:1], v119, v93, s[0:1]
	v_mad_u64_u32 v[98:99], s[0:1], s21, v71, v[68:69]
	v_add_u32_e32 v71, 0x738, v192
	v_mad_u64_u32 v[104:105], s[0:1], s20, v71, 0
	v_add_co_u32_e64 v94, s[0:1], v118, v94
	v_mov_b32_e32 v68, v105
	v_addc_co_u32_e64 v95, s[0:1], v119, v95, s[0:1]
	v_lshlrev_b64 v[96:97], 4, v[97:98]
	v_mad_u64_u32 v[98:99], s[0:1], s21, v71, v[68:69]
	v_add_u32_e32 v71, 0x810, v192
	v_mad_u64_u32 v[106:107], s[0:1], s20, v71, 0
	v_add_co_u32_e64 v96, s[0:1], v118, v96
	v_mov_b32_e32 v105, v98
	v_mov_b32_e32 v68, v107
	v_addc_co_u32_e64 v97, s[0:1], v119, v97, s[0:1]
	v_lshlrev_b64 v[98:99], 4, v[104:105]
	v_mad_u64_u32 v[104:105], s[0:1], s21, v71, v[68:69]
	v_add_co_u32_e64 v98, s[0:1], v118, v98
	v_mov_b32_e32 v107, v104
	global_load_dwordx4 v[124:127], v[64:65], off
	global_load_dwordx4 v[128:131], v[69:70], off
	v_lshlrev_b64 v[64:65], 4, v[106:107]
	v_addc_co_u32_e64 v99, s[0:1], v119, v99, s[0:1]
	v_add_co_u32_e64 v64, s[0:1], v118, v64
	v_addc_co_u32_e64 v65, s[0:1], v119, v65, s[0:1]
	global_load_dwordx4 v[136:139], v[66:67], off
	global_load_dwordx4 v[144:147], v[92:93], off
                                        ; kill: killed $vgpr66 killed $vgpr67
                                        ; kill: killed $vgpr92 killed $vgpr93
	global_load_dwordx4 v[156:159], v[94:95], off
	global_load_dwordx4 v[140:143], v[96:97], off
	;; [unrolled: 1-line block ×4, first 2 shown]
	v_cmp_gt_u32_e64 s[0:1], 36, v192
                                        ; implicit-def: $vgpr68_vgpr69
                                        ; implicit-def: $vgpr64_vgpr65
                                        ; implicit-def: $vgpr96_vgpr97
                                        ; implicit-def: $vgpr92_vgpr93
                                        ; implicit-def: $vgpr104_vgpr105
	s_and_saveexec_b64 s[8:9], s[0:1]
	s_cbranch_execz .LBB0_14
; %bb.13:
	v_add_u32_e32 v68, 0xb4, v192
	v_add_u32_e32 v70, 0x18c, v192
	v_mad_u64_u32 v[64:65], s[0:1], s20, v68, 0
	v_mad_u64_u32 v[66:67], s[0:1], s20, v70, 0
	v_add_u32_e32 v96, 0x33c, v192
	v_add_u32_e32 v97, 0x414, v192
	v_mad_u64_u32 v[68:69], s[0:1], s21, v68, v[65:66]
	v_add_u32_e32 v69, 0x264, v192
	v_add_u32_e32 v108, 0x4ec, v192
	v_mov_b32_e32 v65, v68
	v_lshlrev_b64 v[64:65], 4, v[64:65]
	v_mad_u64_u32 v[67:68], s[0:1], s21, v70, v[67:68]
	v_add_co_u32_e64 v64, s[0:1], v118, v64
	v_addc_co_u32_e64 v65, s[0:1], v119, v65, s[0:1]
	v_mad_u64_u32 v[92:93], s[0:1], s20, v69, 0
	v_lshlrev_b64 v[66:67], 4, v[66:67]
	v_add_u32_e32 v109, 0x5c4, v192
	v_add_co_u32_e64 v66, s[0:1], v118, v66
	v_mov_b32_e32 v68, v93
	v_addc_co_u32_e64 v67, s[0:1], v119, v67, s[0:1]
	v_mad_u64_u32 v[93:94], s[0:1], s21, v69, v[68:69]
	v_mad_u64_u32 v[94:95], s[0:1], s20, v96, 0
	v_lshlrev_b64 v[92:93], 4, v[92:93]
	v_add_u32_e32 v123, 0x69c, v192
	v_mad_u64_u32 v[95:96], s[0:1], s21, v96, v[95:96]
	v_add_co_u32_e64 v92, s[0:1], v118, v92
	v_addc_co_u32_e64 v93, s[0:1], v119, v93, s[0:1]
	v_mad_u64_u32 v[104:105], s[0:1], s20, v97, 0
	v_lshlrev_b64 v[94:95], 4, v[94:95]
	v_add_u32_e32 v164, 0x84c, v192
	v_add_co_u32_e64 v94, s[0:1], v118, v94
	v_mov_b32_e32 v96, v105
	v_addc_co_u32_e64 v95, s[0:1], v119, v95, s[0:1]
	v_mad_u64_u32 v[105:106], s[0:1], s21, v97, v[96:97]
	v_mad_u64_u32 v[106:107], s[0:1], s20, v108, 0
	v_lshlrev_b64 v[104:105], 4, v[104:105]
	global_load_dwordx4 v[68:71], v[64:65], off
	s_nop 0
	global_load_dwordx4 v[64:67], v[66:67], off
	v_mad_u64_u32 v[107:108], s[0:1], s21, v108, v[107:108]
	v_add_co_u32_e64 v104, s[0:1], v118, v104
	v_addc_co_u32_e64 v105, s[0:1], v119, v105, s[0:1]
	v_mad_u64_u32 v[116:117], s[0:1], s20, v109, 0
	v_lshlrev_b64 v[106:107], 4, v[106:107]
	global_load_dwordx4 v[96:99], v[92:93], off
	s_nop 0
	global_load_dwordx4 v[92:95], v[94:95], off
	v_add_co_u32_e64 v106, s[0:1], v118, v106
	v_mov_b32_e32 v108, v117
	v_addc_co_u32_e64 v107, s[0:1], v119, v107, s[0:1]
	v_mad_u64_u32 v[120:121], s[0:1], s21, v109, v[108:109]
	v_mad_u64_u32 v[121:122], s[0:1], s20, v123, 0
	v_mov_b32_e32 v117, v120
	v_lshlrev_b64 v[116:117], 4, v[116:117]
	v_mov_b32_e32 v120, v122
	v_mad_u64_u32 v[122:123], s[0:1], s21, v123, v[120:121]
	v_add_co_u32_e64 v116, s[0:1], v118, v116
	v_add_u32_e32 v123, 0x774, v192
	v_addc_co_u32_e64 v117, s[0:1], v119, v117, s[0:1]
	v_mad_u64_u32 v[152:153], s[0:1], s20, v123, 0
	v_lshlrev_b64 v[120:121], 4, v[121:122]
	global_load_dwordx4 v[108:111], v[104:105], off
	s_nop 0
	global_load_dwordx4 v[104:107], v[106:107], off
	v_add_co_u32_e64 v120, s[0:1], v118, v120
	v_mov_b32_e32 v122, v153
	v_addc_co_u32_e64 v121, s[0:1], v119, v121, s[0:1]
	v_mad_u64_u32 v[153:154], s[0:1], s21, v123, v[122:123]
	v_mad_u64_u32 v[154:155], s[0:1], s20, v164, 0
	global_load_dwordx4 v[132:135], v[116:117], off
	s_nop 0
	global_load_dwordx4 v[120:123], v[120:121], off
	v_lshlrev_b64 v[116:117], 4, v[152:153]
	v_mov_b32_e32 v152, v155
	v_mad_u64_u32 v[152:153], s[0:1], s21, v164, v[152:153]
	v_add_co_u32_e64 v116, s[0:1], v118, v116
	v_mov_b32_e32 v155, v152
	v_lshlrev_b64 v[152:153], 4, v[154:155]
	v_addc_co_u32_e64 v117, s[0:1], v119, v117, s[0:1]
	v_add_co_u32_e64 v118, s[0:1], v118, v152
	v_addc_co_u32_e64 v119, s[0:1], v119, v153, s[0:1]
	global_load_dwordx4 v[152:155], v[116:117], off
	s_nop 0
	global_load_dwordx4 v[116:119], v[118:119], off
.LBB0_14:
	s_or_b64 exec, exec, s[8:9]
.LBB0_15:
	s_or_b64 exec, exec, s[6:7]
	s_waitcnt vmcnt(27)
	v_add_f64 v[164:165], v[12:13], v[4:5]
	s_waitcnt vmcnt(23)
	v_add_f64 v[166:167], v[32:33], v[20:21]
	s_waitcnt vmcnt(21)
	v_add_f64 v[168:169], v[14:15], -v[46:47]
	v_add_f64 v[172:173], v[44:45], v[12:13]
	s_mov_b32 s8, 0x134454ff
	s_mov_b32 s9, 0xbfee6f0e
	s_mov_b32 s7, 0x3fee6f0e
	s_mov_b32 s6, s8
	v_add_f64 v[164:165], v[20:21], v[164:165]
	v_fma_f64 v[166:167], v[166:167], -0.5, v[4:5]
	v_add_f64 v[170:171], v[22:23], -v[34:35]
	v_add_f64 v[174:175], v[12:13], -v[20:21]
	;; [unrolled: 1-line block ×3, first 2 shown]
	v_fma_f64 v[4:5], v[172:173], -0.5, v[4:5]
	s_mov_b32 s16, 0x4755a5e
	s_mov_b32 s17, 0xbfe2cf23
	v_add_f64 v[164:165], v[32:33], v[164:165]
	v_fma_f64 v[172:173], v[168:169], s[8:9], v[166:167]
	v_fma_f64 v[166:167], v[168:169], s[6:7], v[166:167]
	s_mov_b32 s15, 0x3fe2cf23
	s_mov_b32 s14, s16
	v_add_f64 v[174:175], v[176:177], v[174:175]
	v_add_f64 v[184:185], v[28:29], v[16:17]
	s_mov_b32 s18, 0x372fe950
	v_add_f64 v[182:183], v[44:45], v[164:165]
	v_fma_f64 v[164:165], v[170:171], s[16:17], v[172:173]
	v_add_f64 v[172:173], v[8:9], v[0:1]
	v_fma_f64 v[166:167], v[170:171], s[14:15], v[166:167]
	s_mov_b32 s19, 0x3fd3c6ef
	v_add_f64 v[178:179], v[20:21], -v[12:13]
	v_add_f64 v[180:181], v[32:33], -v[44:45]
	v_fma_f64 v[176:177], v[170:171], s[6:7], v[4:5]
	v_fma_f64 v[4:5], v[170:171], s[8:9], v[4:5]
	s_waitcnt vmcnt(20)
	v_add_f64 v[188:189], v[42:43], v[10:11]
	v_add_f64 v[170:171], v[16:17], v[172:173]
	v_fma_f64 v[172:173], v[184:185], -0.5, v[0:1]
	v_fma_f64 v[184:185], v[174:175], s[18:19], v[164:165]
	v_fma_f64 v[174:175], v[174:175], s[18:19], v[166:167]
	v_add_f64 v[164:165], v[40:41], v[8:9]
	v_add_f64 v[166:167], v[30:31], v[18:19]
	v_fma_f64 v[176:177], v[168:169], s[16:17], v[176:177]
	v_add_f64 v[178:179], v[180:181], v[178:179]
	v_fma_f64 v[4:5], v[168:169], s[14:15], v[4:5]
	v_add_f64 v[180:181], v[10:11], -v[42:43]
	v_add_f64 v[168:169], v[28:29], v[170:171]
	v_fma_f64 v[188:189], v[188:189], -0.5, v[2:3]
	v_fma_f64 v[0:1], v[164:165], -0.5, v[0:1]
	;; [unrolled: 1-line block ×3, first 2 shown]
	v_add_f64 v[166:167], v[8:9], -v[40:41]
	v_fma_f64 v[176:177], v[178:179], s[18:19], v[176:177]
	v_fma_f64 v[178:179], v[178:179], s[18:19], v[4:5]
	v_add_f64 v[4:5], v[16:17], -v[28:29]
	v_add_f64 v[199:200], v[10:11], -v[18:19]
	;; [unrolled: 1-line block ×3, first 2 shown]
	v_fma_f64 v[170:171], v[180:181], s[8:9], v[172:173]
	v_add_f64 v[186:187], v[18:19], -v[30:31]
	v_fma_f64 v[197:198], v[166:167], s[6:7], v[164:165]
	v_add_f64 v[190:191], v[8:9], -v[16:17]
	v_add_f64 v[195:196], v[40:41], -v[28:29]
	v_add_f64 v[168:169], v[40:41], v[168:169]
	v_fma_f64 v[203:204], v[4:5], s[8:9], v[188:189]
	v_add_f64 v[205:206], v[18:19], -v[10:11]
	v_add_f64 v[207:208], v[30:31], -v[42:43]
	;; [unrolled: 1-line block ×4, first 2 shown]
	v_fma_f64 v[28:29], v[4:5], s[6:7], v[188:189]
	v_fma_f64 v[40:41], v[4:5], s[14:15], v[197:198]
	v_add_f64 v[188:189], v[201:202], v[199:200]
	v_fma_f64 v[164:165], v[166:167], s[8:9], v[164:165]
	v_fma_f64 v[170:171], v[186:187], s[16:17], v[170:171]
	v_add_f64 v[190:191], v[195:196], v[190:191]
	;; [unrolled: 3-line block ×4, first 2 shown]
	v_fma_f64 v[0:1], v[188:189], s[18:19], v[40:41]
	v_fma_f64 v[16:17], v[4:5], s[16:17], v[164:165]
	v_fma_f64 v[28:29], v[166:167], s[16:17], v[28:29]
	v_fma_f64 v[195:196], v[180:181], s[16:17], v[195:196]
	v_fma_f64 v[4:5], v[199:200], s[18:19], v[197:198]
	v_fma_f64 v[40:41], v[186:187], s[14:15], v[172:173]
	v_fma_f64 v[166:167], v[190:191], s[18:19], v[170:171]
	s_mov_b32 s20, 0x9b97f4a8
	v_mul_f64 v[170:171], v[0:1], s[16:17]
	v_fma_f64 v[16:17], v[188:189], s[18:19], v[16:17]
	s_mov_b32 s21, 0x3fe9e377
	v_fma_f64 v[172:173], v[180:181], s[14:15], v[201:202]
	v_fma_f64 v[8:9], v[199:200], s[18:19], v[28:29]
	;; [unrolled: 1-line block ×3, first 2 shown]
	v_mul_f64 v[180:181], v[4:5], s[8:9]
	v_fma_f64 v[28:29], v[190:191], s[18:19], v[40:41]
	v_fma_f64 v[186:187], v[166:167], s[20:21], v[170:171]
	v_mul_f64 v[170:171], v[16:17], s[16:17]
	s_waitcnt vmcnt(13)
	v_add_f64 v[188:189], v[88:89], v[60:61]
	s_mov_b32 s25, 0xbfe9e377
	s_mov_b32 s24, s20
	v_fma_f64 v[40:41], v[203:204], s[18:19], v[172:173]
	v_mul_f64 v[172:173], v[8:9], s[8:9]
	v_fma_f64 v[180:181], v[164:165], s[18:19], v[180:181]
	v_add_f64 v[206:207], v[48:49], v[36:37]
	v_fma_f64 v[195:196], v[28:29], s[24:25], v[170:171]
	v_add_f64 v[170:171], v[168:169], v[182:183]
	v_fma_f64 v[188:189], v[188:189], -0.5, v[36:37]
	s_waitcnt vmcnt(11)
	v_add_f64 v[214:215], v[50:51], -v[102:103]
	v_add_f64 v[204:205], v[182:183], -v[168:169]
	v_add_f64 v[182:183], v[100:101], v[48:49]
	s_mov_b32 s23, 0xbfd3c6ef
	s_mov_b32 s22, s18
	v_fma_f64 v[190:191], v[40:41], s[22:23], v[172:173]
	v_add_f64 v[198:199], v[176:177], v[180:181]
	v_add_f64 v[168:169], v[60:61], v[206:207]
	v_fma_f64 v[212:213], v[214:215], s[8:9], v[188:189]
	v_add_f64 v[216:217], v[62:63], -v[90:91]
	v_add_f64 v[218:219], v[48:49], -v[60:61]
	;; [unrolled: 1-line block ×4, first 2 shown]
	v_fma_f64 v[176:177], v[214:215], s[6:7], v[188:189]
	v_fma_f64 v[36:37], v[182:183], -0.5, v[36:37]
	v_add_f64 v[172:173], v[184:185], v[186:187]
	v_add_f64 v[200:201], v[178:179], v[190:191]
	;; [unrolled: 1-line block ×3, first 2 shown]
	v_add_f64 v[206:207], v[184:185], -v[186:187]
	v_add_f64 v[210:211], v[178:179], -v[190:191]
	v_add_f64 v[168:169], v[88:89], v[168:169]
	v_fma_f64 v[178:179], v[216:217], s[16:17], v[212:213]
	v_add_f64 v[180:181], v[220:221], v[218:219]
	v_add_f64 v[212:213], v[174:175], -v[195:196]
	v_add_f64 v[174:175], v[80:81], v[56:57]
	v_fma_f64 v[176:177], v[216:217], s[14:15], v[176:177]
	v_fma_f64 v[182:183], v[216:217], s[6:7], v[36:37]
	v_add_f64 v[184:185], v[60:61], -v[48:49]
	v_add_f64 v[186:187], v[88:89], -v[100:101]
	v_add_f64 v[188:189], v[100:101], v[168:169]
	v_fma_f64 v[190:191], v[180:181], s[18:19], v[178:179]
	v_add_f64 v[168:169], v[52:53], v[24:25]
	v_fma_f64 v[174:175], v[174:175], -0.5, v[24:25]
	s_waitcnt vmcnt(10)
	v_add_f64 v[178:179], v[54:55], -v[78:79]
	v_fma_f64 v[176:177], v[180:181], s[18:19], v[176:177]
	v_fma_f64 v[180:181], v[214:215], s[16:17], v[182:183]
	v_add_f64 v[182:183], v[186:187], v[184:185]
	v_fma_f64 v[36:37], v[216:217], s[8:9], v[36:37]
	v_add_f64 v[184:185], v[76:77], v[52:53]
	v_add_f64 v[186:187], v[82:83], v[58:59]
	;; [unrolled: 1-line block ×4, first 2 shown]
	v_fma_f64 v[195:196], v[178:179], s[8:9], v[174:175]
	v_add_f64 v[216:217], v[58:59], -v[82:83]
	v_add_f64 v[220:221], v[52:53], -v[56:57]
	;; [unrolled: 1-line block ×3, first 2 shown]
	v_fma_f64 v[24:25], v[184:185], -0.5, v[24:25]
	v_fma_f64 v[184:185], v[186:187], -0.5, v[26:27]
	v_add_f64 v[186:187], v[52:53], -v[76:77]
	v_fma_f64 v[214:215], v[214:215], s[14:15], v[36:37]
	v_add_f64 v[36:37], v[56:57], -v[80:81]
	v_fma_f64 v[218:219], v[218:219], -0.5, v[26:27]
	v_add_f64 v[224:225], v[80:81], v[168:169]
	v_fma_f64 v[168:169], v[216:217], s[16:17], v[195:196]
	v_add_f64 v[195:196], v[222:223], v[220:221]
	v_add_f64 v[226:227], v[54:55], -v[58:59]
	v_fma_f64 v[222:223], v[186:187], s[6:7], v[184:185]
	v_add_f64 v[228:229], v[78:79], -v[82:83]
	v_add_f64 v[232:233], v[58:59], -v[54:55]
	v_fma_f64 v[230:231], v[36:37], s[8:9], v[218:219]
	v_add_f64 v[234:235], v[82:83], -v[78:79]
	v_fma_f64 v[220:221], v[216:217], s[6:7], v[24:25]
	v_add_f64 v[52:53], v[56:57], -v[52:53]
	v_add_f64 v[56:57], v[80:81], -v[76:77]
	v_fma_f64 v[80:81], v[36:37], s[6:7], v[218:219]
	v_fma_f64 v[184:185], v[186:187], s[8:9], v[184:185]
	;; [unrolled: 1-line block ×3, first 2 shown]
	v_add_f64 v[222:223], v[228:229], v[226:227]
	v_fma_f64 v[226:227], v[186:187], s[14:15], v[230:231]
	v_add_f64 v[228:229], v[234:235], v[232:233]
	v_fma_f64 v[24:25], v[216:217], s[8:9], v[24:25]
	v_fma_f64 v[174:175], v[178:179], s[6:7], v[174:175]
	;; [unrolled: 1-line block ×5, first 2 shown]
	v_add_f64 v[220:221], v[56:57], v[52:53]
	v_fma_f64 v[36:37], v[222:223], s[18:19], v[218:219]
	v_fma_f64 v[52:53], v[228:229], s[18:19], v[226:227]
	;; [unrolled: 1-line block ×8, first 2 shown]
	v_mul_f64 v[184:185], v[36:37], s[16:17]
	v_mul_f64 v[186:187], v[52:53], s[8:9]
	v_fma_f64 v[168:169], v[220:221], s[18:19], v[218:219]
	v_add_f64 v[76:77], v[76:77], v[224:225]
	s_waitcnt vmcnt(3)
	v_add_f64 v[220:221], v[156:157], v[136:137]
	s_waitcnt vmcnt(1)
	v_add_f64 v[224:225], v[148:149], v[124:125]
	v_fma_f64 v[24:25], v[195:196], s[18:19], v[216:217]
	v_mul_f64 v[195:196], v[80:81], s[8:9]
	v_mul_f64 v[216:217], v[56:57], s[16:17]
	v_fma_f64 v[180:181], v[182:183], s[18:19], v[180:181]
	v_fma_f64 v[184:185], v[178:179], s[20:21], v[184:185]
	;; [unrolled: 1-line block ×3, first 2 shown]
	v_fma_f64 v[230:231], v[220:221], -0.5, v[84:85]
	v_add_f64 v[234:235], v[126:127], -v[150:151]
	v_add_f64 v[236:237], v[138:139], -v[158:159]
	v_fma_f64 v[238:239], v[224:225], -0.5, v[84:85]
	v_fma_f64 v[182:183], v[182:183], s[18:19], v[214:215]
	v_fma_f64 v[195:196], v[168:169], s[22:23], v[195:196]
	v_fma_f64 v[232:233], v[24:25], s[24:25], v[216:217]
	v_add_f64 v[214:215], v[76:77], v[188:189]
	v_add_f64 v[216:217], v[190:191], v[184:185]
	;; [unrolled: 1-line block ×3, first 2 shown]
	v_add_f64 v[224:225], v[188:189], -v[76:77]
	v_add_f64 v[226:227], v[190:191], -v[184:185]
	;; [unrolled: 1-line block ×3, first 2 shown]
	v_fma_f64 v[76:77], v[234:235], s[8:9], v[230:231]
	v_add_f64 v[180:181], v[124:125], -v[136:137]
	v_add_f64 v[184:185], v[148:149], -v[156:157]
	v_fma_f64 v[186:187], v[234:235], s[6:7], v[230:231]
	v_fma_f64 v[188:189], v[236:237], s[6:7], v[238:239]
	v_add_f64 v[190:191], v[136:137], -v[124:125]
	v_add_f64 v[240:241], v[156:157], -v[148:149]
	v_fma_f64 v[238:239], v[236:237], s[8:9], v[238:239]
	v_add_f64 v[220:221], v[182:183], v[195:196]
	v_add_f64 v[230:231], v[182:183], -v[195:196]
	v_fma_f64 v[76:77], v[236:237], s[16:17], v[76:77]
	v_add_f64 v[180:181], v[184:185], v[180:181]
	v_fma_f64 v[182:183], v[236:237], s[14:15], v[186:187]
	v_fma_f64 v[184:185], v[234:235], s[16:17], v[188:189]
	s_waitcnt vmcnt(0)
	v_add_f64 v[186:187], v[112:113], v[128:129]
	v_add_f64 v[188:189], v[240:241], v[190:191]
	v_fma_f64 v[190:191], v[234:235], s[14:15], v[238:239]
	v_add_f64 v[195:196], v[140:141], v[144:145]
	v_add_f64 v[222:223], v[176:177], v[232:233]
	v_add_f64 v[232:233], v[176:177], -v[232:233]
	v_fma_f64 v[176:177], v[180:181], s[18:19], v[76:77]
	v_fma_f64 v[252:253], v[180:181], s[18:19], v[182:183]
	v_add_f64 v[182:183], v[146:147], -v[142:143]
	v_fma_f64 v[76:77], v[186:187], -0.5, v[72:73]
	v_fma_f64 v[242:243], v[188:189], s[18:19], v[184:185]
	v_fma_f64 v[250:251], v[188:189], s[18:19], v[190:191]
	v_fma_f64 v[180:181], v[195:196], -0.5, v[72:73]
	v_add_f64 v[184:185], v[142:143], v[146:147]
	v_add_f64 v[186:187], v[130:131], -v[114:115]
	v_add_f64 v[188:189], v[128:129], -v[144:145]
	;; [unrolled: 1-line block ×3, first 2 shown]
	v_fma_f64 v[195:196], v[182:183], s[6:7], v[76:77]
	v_add_f64 v[234:235], v[144:145], -v[128:129]
	v_add_f64 v[236:237], v[140:141], -v[112:113]
	v_fma_f64 v[76:77], v[182:183], s[8:9], v[76:77]
	v_fma_f64 v[184:185], v[184:185], -0.5, v[74:75]
	v_add_f64 v[238:239], v[128:129], -v[112:113]
	v_fma_f64 v[240:241], v[186:187], s[8:9], v[180:181]
	v_add_f64 v[244:245], v[190:191], v[188:189]
	v_fma_f64 v[188:189], v[186:187], s[6:7], v[180:181]
	v_add_f64 v[180:181], v[114:115], v[130:131]
	;; [unrolled: 2-line block ×3, first 2 shown]
	v_fma_f64 v[186:187], v[186:187], s[14:15], v[76:77]
	v_fma_f64 v[76:77], v[238:239], s[6:7], v[184:185]
	v_add_f64 v[234:235], v[144:145], -v[140:141]
	v_add_f64 v[236:237], v[130:131], -v[146:147]
	;; [unrolled: 1-line block ×3, first 2 shown]
	v_fma_f64 v[184:185], v[238:239], s[8:9], v[184:185]
	v_fma_f64 v[180:181], v[180:181], -0.5, v[74:75]
	v_add_f64 v[84:85], v[124:125], v[84:85]
	v_add_f64 v[72:73], v[128:129], v[72:73]
	v_fma_f64 v[190:191], v[195:196], s[18:19], v[190:191]
	v_fma_f64 v[248:249], v[234:235], s[14:15], v[76:77]
	v_cmp_gt_u32_e64 s[0:1], 36, v192
	v_add_f64 v[236:237], v[246:247], v[236:237]
	v_fma_f64 v[184:185], v[234:235], s[16:17], v[184:185]
	v_fma_f64 v[76:77], v[234:235], s[8:9], v[180:181]
	;; [unrolled: 1-line block ×3, first 2 shown]
	v_add_f64 v[234:235], v[146:147], -v[130:131]
	v_add_f64 v[246:247], v[142:143], -v[114:115]
	v_add_f64 v[84:85], v[136:137], v[84:85]
	v_add_f64 v[128:129], v[144:145], v[72:73]
	v_fma_f64 v[144:145], v[182:183], s[16:17], v[240:241]
	v_fma_f64 v[72:73], v[236:237], s[18:19], v[248:249]
	;; [unrolled: 1-line block ×4, first 2 shown]
	v_add_f64 v[234:235], v[246:247], v[234:235]
	v_add_f64 v[84:85], v[156:157], v[84:85]
	;; [unrolled: 1-line block ×3, first 2 shown]
	v_fma_f64 v[140:141], v[182:183], s[14:15], v[188:189]
	v_fma_f64 v[182:183], v[236:237], s[18:19], v[184:185]
	;; [unrolled: 1-line block ×3, first 2 shown]
	v_mul_f64 v[144:145], v[72:73], s[16:17]
	v_fma_f64 v[184:185], v[195:196], s[18:19], v[186:187]
	v_fma_f64 v[76:77], v[234:235], s[18:19], v[76:77]
	;; [unrolled: 1-line block ×3, first 2 shown]
	v_add_f64 v[84:85], v[148:149], v[84:85]
	v_add_f64 v[112:113], v[112:113], v[128:129]
	v_fma_f64 v[186:187], v[244:245], s[18:19], v[140:141]
	v_mul_f64 v[140:141], v[182:183], s[16:17]
	v_fma_f64 v[128:129], v[188:189], s[20:21], v[144:145]
	v_mul_f64 v[234:235], v[76:77], s[8:9]
	v_mul_f64 v[195:196], v[180:181], s[8:9]
	v_add_f64 v[248:249], v[84:85], -v[112:113]
	v_fma_f64 v[140:141], v[186:187], s[24:25], v[140:141]
	v_add_f64 v[236:237], v[176:177], v[128:129]
	v_add_f64 v[238:239], v[176:177], -v[128:129]
	v_fma_f64 v[144:145], v[190:191], s[18:19], v[234:235]
	v_add_f64 v[234:235], v[112:113], v[84:85]
	v_mul_u32_u24_e32 v84, 10, v192
	v_lshl_add_u32 v197, v84, 3, 0
	v_add_f64 v[84:85], v[120:121], v[104:105]
	v_add_f64 v[246:247], v[252:253], v[140:141]
	v_add_f64 v[252:253], v[252:253], -v[140:141]
	v_add_f64 v[112:113], v[94:95], -v[118:119]
	;; [unrolled: 1-line block ×3, first 2 shown]
	v_add_f64 v[242:243], v[242:243], v[144:145]
	v_add_f64 v[128:129], v[92:93], -v[104:105]
	v_add_f64 v[140:141], v[116:117], -v[120:121]
	v_fma_f64 v[84:85], v[84:85], -0.5, v[64:65]
	v_add_f64 v[144:145], v[116:117], v[92:93]
	ds_write_b128 v197, v[170:173]
	v_add_f64 v[176:177], v[120:121], -v[116:117]
	v_fma_f64 v[195:196], v[184:185], s[22:23], v[195:196]
	ds_write_b128 v197, v[198:201] offset:16
	v_add_f64 v[200:201], v[118:119], v[94:95]
	v_add_f64 v[128:129], v[140:141], v[128:129]
	v_fma_f64 v[170:171], v[112:113], s[8:9], v[84:85]
	v_add_f64 v[140:141], v[106:107], -v[122:123]
	v_fma_f64 v[84:85], v[112:113], s[6:7], v[84:85]
	v_fma_f64 v[144:145], v[144:145], -0.5, v[64:65]
	v_add_f64 v[244:245], v[250:251], v[195:196]
	v_add_f64 v[250:251], v[250:251], -v[195:196]
	v_add_f64 v[195:196], v[92:93], -v[116:117]
	ds_write_b128 v197, v[202:205] offset:32
	v_fma_f64 v[200:201], v[200:201], -0.5, v[66:67]
	v_fma_f64 v[170:171], v[140:141], s[16:17], v[170:171]
	v_fma_f64 v[84:85], v[140:141], s[14:15], v[84:85]
	;; [unrolled: 1-line block ×4, first 2 shown]
	v_add_f64 v[144:145], v[104:105], -v[92:93]
	v_add_f64 v[202:203], v[104:105], -v[120:121]
	ds_write_b128 v197, v[206:209] offset:48
	v_add_f64 v[206:207], v[122:123], -v[118:119]
	ds_write_b128 v197, v[210:213] offset:64
	v_fma_f64 v[84:85], v[128:129], s[18:19], v[84:85]
	v_fma_f64 v[172:173], v[112:113], s[16:17], v[172:173]
	;; [unrolled: 1-line block ×3, first 2 shown]
	v_add_f64 v[144:145], v[176:177], v[144:145]
	v_add_f64 v[140:141], v[94:95], -v[106:107]
	v_add_f64 v[176:177], v[118:119], -v[122:123]
	v_fma_f64 v[112:113], v[144:145], s[18:19], v[112:113]
	v_add_f64 v[140:141], v[176:177], v[140:141]
	v_add_f64 v[176:177], v[122:123], v[106:107]
	v_fma_f64 v[176:177], v[176:177], -0.5, v[66:67]
	v_fma_f64 v[198:199], v[195:196], s[6:7], v[176:177]
	v_fma_f64 v[176:177], v[195:196], s[8:9], v[176:177]
	;; [unrolled: 1-line block ×6, first 2 shown]
	v_add_f64 v[202:203], v[106:107], -v[94:95]
	v_add_f64 v[202:203], v[206:207], v[202:203]
	v_fma_f64 v[206:207], v[195:196], s[14:15], v[176:177]
	v_fma_f64 v[195:196], v[195:196], s[16:17], v[200:201]
	;; [unrolled: 1-line block ×8, first 2 shown]
	v_mul_i32_i24_e32 v195, 10, v193
	v_mul_i32_i24_e32 v196, 10, v194
	v_lshl_add_u32 v195, v195, 3, 0
	v_lshl_add_u32 v196, v196, 3, 0
	ds_write_b128 v195, v[214:217]
	ds_write_b128 v195, v[218:221] offset:16
	ds_write_b128 v195, v[222:225] offset:32
	ds_write_b128 v195, v[226:229] offset:48
	ds_write_b128 v195, v[230:233] offset:64
	ds_write_b128 v196, v[234:237]
	ds_write_b128 v196, v[242:245] offset:16
	ds_write_b128 v196, v[246:249] offset:32
	ds_write_b128 v196, v[238:241] offset:48
	ds_write_b128 v196, v[250:253] offset:64
	s_and_saveexec_b64 s[26:27], s[0:1]
	s_cbranch_execz .LBB0_17
; %bb.16:
	v_add_f64 v[198:199], v[132:133], v[108:109]
	v_add_f64 v[200:201], v[152:153], v[96:97]
	v_add_f64 v[206:207], v[98:99], -v[154:155]
	v_add_f64 v[64:65], v[92:93], v[64:65]
	v_add_f64 v[208:209], v[110:111], -v[134:135]
	v_add_f64 v[202:203], v[96:97], -v[108:109]
	;; [unrolled: 1-line block ×4, first 2 shown]
	v_fma_f64 v[198:199], v[198:199], -0.5, v[68:69]
	v_fma_f64 v[200:201], v[200:201], -0.5, v[68:69]
	v_add_f64 v[68:69], v[96:97], v[68:69]
	v_add_f64 v[214:215], v[132:133], -v[152:153]
	v_add_f64 v[64:65], v[104:105], v[64:65]
	v_mul_f64 v[210:211], v[144:145], s[16:17]
	v_add_f64 v[202:203], v[204:205], v[202:203]
	v_mul_f64 v[216:217], v[172:173], s[8:9]
	v_fma_f64 v[104:105], v[206:207], s[8:9], v[198:199]
	v_fma_f64 v[218:219], v[206:207], s[6:7], v[198:199]
	v_add_f64 v[68:69], v[108:109], v[68:69]
	v_fma_f64 v[220:221], v[208:209], s[8:9], v[200:201]
	v_fma_f64 v[200:201], v[208:209], s[6:7], v[200:201]
	v_add_f64 v[204:205], v[214:215], v[212:213]
	v_mul_f64 v[214:215], v[128:129], s[16:17]
	v_add_f64 v[64:65], v[120:121], v[64:65]
	v_fma_f64 v[104:105], v[208:209], s[16:17], v[104:105]
	v_mul_f64 v[92:93], v[140:141], s[8:9]
	v_add_f64 v[68:69], v[132:133], v[68:69]
	v_fma_f64 v[198:199], v[208:209], s[14:15], v[218:219]
	v_fma_f64 v[212:213], v[206:207], s[14:15], v[220:221]
	;; [unrolled: 1-line block ×4, first 2 shown]
	v_add_f64 v[64:65], v[116:117], v[64:65]
	v_fma_f64 v[116:117], v[176:177], s[20:21], v[214:215]
	v_fma_f64 v[104:105], v[202:203], s[18:19], v[104:105]
	v_add_f64 v[68:69], v[152:153], v[68:69]
	v_fma_f64 v[120:121], v[202:203], s[18:19], v[198:199]
	v_fma_f64 v[198:199], v[204:205], s[18:19], v[212:213]
	;; [unrolled: 1-line block ×5, first 2 shown]
	v_add_f64 v[216:217], v[104:105], v[116:117]
	v_add_f64 v[214:215], v[64:65], v[68:69]
	v_add_f64 v[200:201], v[120:121], -v[206:207]
	v_add_f64 v[208:209], v[68:69], -v[64:65]
	v_add_f64 v[212:213], v[198:199], v[218:219]
	v_add_f64 v[206:207], v[120:121], v[206:207]
	v_add_f64 v[204:205], v[210:211], -v[92:93]
	v_add_f64 v[210:211], v[210:211], v[92:93]
	v_add_f64 v[202:203], v[104:105], -v[116:117]
	v_add_f64 v[198:199], v[198:199], -v[218:219]
	ds_write_b128 v197, v[214:217] offset:14400
	ds_write_b128 v197, v[210:213] offset:14416
	;; [unrolled: 1-line block ×5, first 2 shown]
.LBB0_17:
	s_or_b64 exec, exec, s[26:27]
	v_add_f64 v[64:65], v[34:35], v[22:23]
	v_add_f64 v[68:69], v[46:47], v[14:15]
	;; [unrolled: 1-line block ×4, first 2 shown]
	v_add_f64 v[12:13], v[12:13], -v[44:45]
	v_add_f64 v[20:21], v[20:21], -v[32:33]
	;; [unrolled: 1-line block ×4, first 2 shown]
	v_fma_f64 v[64:65], v[64:65], -0.5, v[6:7]
	v_fma_f64 v[6:7], v[68:69], -0.5, v[6:7]
	v_add_f64 v[10:11], v[34:35], -v[46:47]
	v_add_f64 v[22:23], v[22:23], v[92:93]
	v_add_f64 v[2:3], v[18:19], v[2:3]
	v_add_f64 v[44:45], v[46:47], -v[34:35]
	v_mul_f64 v[68:69], v[166:167], s[14:15]
	v_mul_f64 v[104:105], v[164:165], s[6:7]
	v_fma_f64 v[92:93], v[12:13], s[6:7], v[64:65]
	v_fma_f64 v[64:65], v[12:13], s[8:9], v[64:65]
	;; [unrolled: 1-line block ×4, first 2 shown]
	v_add_f64 v[10:11], v[10:11], v[14:15]
	v_add_f64 v[14:15], v[34:35], v[22:23]
	;; [unrolled: 1-line block ×4, first 2 shown]
	v_fma_f64 v[22:23], v[20:21], s[14:15], v[92:93]
	v_fma_f64 v[20:21], v[20:21], s[16:17], v[64:65]
	;; [unrolled: 1-line block ×4, first 2 shown]
	v_mul_f64 v[12:13], v[16:17], s[20:21]
	v_add_f64 v[14:15], v[46:47], v[14:15]
	v_add_f64 v[2:3], v[42:43], v[2:3]
	v_mul_f64 v[8:9], v[8:9], s[18:19]
	v_fma_f64 v[16:17], v[18:19], s[18:19], v[22:23]
	v_fma_f64 v[18:19], v[18:19], s[18:19], v[20:21]
	;; [unrolled: 1-line block ×5, first 2 shown]
	v_fma_f64 v[10:11], v[28:29], s[14:15], -v[12:13]
	v_add_f64 v[44:45], v[2:3], v[14:15]
	v_add_f64 v[12:13], v[90:91], v[62:63]
	v_add_f64 v[200:201], v[14:15], -v[2:3]
	v_add_f64 v[2:3], v[102:103], v[50:51]
	v_fma_f64 v[4:5], v[4:5], s[18:19], v[104:105]
	v_fma_f64 v[8:9], v[40:41], s[6:7], -v[8:9]
	v_add_f64 v[46:47], v[16:17], v[0:1]
	v_add_f64 v[14:15], v[50:51], v[38:39]
	v_add_f64 v[22:23], v[48:49], -v[100:101]
	v_fma_f64 v[12:13], v[12:13], -0.5, v[38:39]
	v_add_f64 v[202:203], v[16:17], -v[0:1]
	v_add_f64 v[0:1], v[60:61], -v[88:89]
	v_fma_f64 v[2:3], v[2:3], -0.5, v[38:39]
	v_add_f64 v[164:165], v[20:21], v[4:5]
	v_add_f64 v[166:167], v[6:7], v[8:9]
	;; [unrolled: 1-line block ×3, first 2 shown]
	v_add_f64 v[204:205], v[20:21], -v[4:5]
	v_add_f64 v[206:207], v[6:7], -v[8:9]
	;; [unrolled: 1-line block ×3, first 2 shown]
	v_add_f64 v[4:5], v[62:63], v[14:15]
	v_fma_f64 v[6:7], v[22:23], s[6:7], v[12:13]
	v_add_f64 v[8:9], v[50:51], -v[62:63]
	v_add_f64 v[10:11], v[54:55], v[26:27]
	v_add_f64 v[14:15], v[102:103], -v[90:91]
	v_fma_f64 v[12:13], v[22:23], s[8:9], v[12:13]
	v_fma_f64 v[16:17], v[0:1], s[8:9], v[2:3]
	v_add_f64 v[18:19], v[62:63], -v[50:51]
	v_add_f64 v[20:21], v[90:91], -v[102:103]
	v_fma_f64 v[2:3], v[0:1], s[6:7], v[2:3]
	v_fma_f64 v[6:7], v[0:1], s[14:15], v[6:7]
	v_add_f64 v[10:11], v[58:59], v[10:11]
	v_add_f64 v[8:9], v[14:15], v[8:9]
	v_fma_f64 v[0:1], v[0:1], s[16:17], v[12:13]
	v_fma_f64 v[12:13], v[22:23], s[14:15], v[16:17]
	v_add_f64 v[4:5], v[90:91], v[4:5]
	v_add_f64 v[14:15], v[20:21], v[18:19]
	v_fma_f64 v[2:3], v[22:23], s[16:17], v[2:3]
	v_mul_f64 v[20:21], v[56:57], s[20:21]
	v_add_f64 v[10:11], v[82:83], v[10:11]
	v_fma_f64 v[6:7], v[8:9], s[18:19], v[6:7]
	v_fma_f64 v[0:1], v[8:9], s[18:19], v[0:1]
	v_add_f64 v[22:23], v[126:127], v[86:87]
	v_add_f64 v[4:5], v[102:103], v[4:5]
	v_fma_f64 v[8:9], v[14:15], s[18:19], v[12:13]
	v_add_f64 v[12:13], v[158:159], v[138:139]
	v_add_f64 v[26:27], v[124:125], -v[148:149]
	v_add_f64 v[10:11], v[78:79], v[10:11]
	v_add_f64 v[28:29], v[150:151], v[126:127]
	v_mul_f64 v[16:17], v[178:179], s[14:15]
	v_fma_f64 v[20:21], v[24:25], s[14:15], -v[20:21]
	v_add_f64 v[22:23], v[138:139], v[22:23]
	v_add_f64 v[30:31], v[136:137], -v[156:157]
	v_fma_f64 v[12:13], v[12:13], -0.5, v[86:87]
	v_add_f64 v[32:33], v[126:127], -v[138:139]
	v_add_f64 v[90:91], v[10:11], v[4:5]
	v_add_f64 v[34:35], v[150:151], -v[158:159]
	v_fma_f64 v[28:29], v[28:29], -0.5, v[86:87]
	v_add_f64 v[216:217], v[4:5], -v[10:11]
	v_add_f64 v[10:11], v[130:131], v[74:75]
	v_mul_f64 v[18:19], v[174:175], s[6:7]
	v_fma_f64 v[24:25], v[26:27], s[6:7], v[12:13]
	v_fma_f64 v[2:3], v[14:15], s[18:19], v[2:3]
	;; [unrolled: 1-line block ×3, first 2 shown]
	v_add_f64 v[4:5], v[158:159], v[22:23]
	v_fma_f64 v[12:13], v[26:27], s[8:9], v[12:13]
	v_add_f64 v[36:37], v[158:159], -v[150:151]
	v_add_f64 v[10:11], v[146:147], v[10:11]
	v_fma_f64 v[16:17], v[52:53], s[18:19], v[18:19]
	v_fma_f64 v[22:23], v[30:31], s[14:15], v[24:25]
	v_add_f64 v[24:25], v[34:35], v[32:33]
	v_fma_f64 v[32:33], v[30:31], s[8:9], v[28:29]
	v_add_f64 v[34:35], v[138:139], -v[126:127]
	v_fma_f64 v[28:29], v[30:31], s[6:7], v[28:29]
	v_mul_f64 v[18:19], v[80:81], s[18:19]
	v_add_f64 v[92:93], v[6:7], v[14:15]
	v_add_f64 v[124:125], v[6:7], -v[14:15]
	v_fma_f64 v[12:13], v[30:31], s[16:17], v[12:13]
	v_fma_f64 v[6:7], v[24:25], s[18:19], v[22:23]
	;; [unrolled: 1-line block ×3, first 2 shown]
	v_add_f64 v[22:23], v[36:37], v[34:35]
	v_fma_f64 v[26:27], v[26:27], s[16:17], v[28:29]
	v_add_f64 v[10:11], v[142:143], v[10:11]
	v_mul_f64 v[28:29], v[188:189], s[14:15]
	v_mul_f64 v[30:31], v[190:191], s[6:7]
	;; [unrolled: 1-line block ×4, first 2 shown]
	v_fma_f64 v[18:19], v[168:169], s[6:7], -v[18:19]
	v_add_f64 v[4:5], v[150:151], v[4:5]
	v_fma_f64 v[12:13], v[24:25], s[18:19], v[12:13]
	v_fma_f64 v[14:15], v[22:23], s[18:19], v[14:15]
	;; [unrolled: 1-line block ×3, first 2 shown]
	v_add_f64 v[10:11], v[114:115], v[10:11]
	v_fma_f64 v[24:25], v[72:73], s[20:21], v[28:29]
	v_fma_f64 v[26:27], v[76:77], s[18:19], v[30:31]
	v_fma_f64 v[28:29], v[184:185], s[6:7], -v[32:33]
	v_fma_f64 v[30:31], v[186:187], s[14:15], -v[34:35]
	v_lshl_add_u32 v120, v192, 3, 0
	s_movk_i32 s6, 0xffb8
	v_add_f64 v[214:215], v[0:1], v[20:21]
	v_add_f64 v[138:139], v[0:1], -v[20:21]
	v_add_u32_e32 v80, 0x800, v120
	v_add_u32_e32 v86, 0x1400, v120
	v_add_u32_e32 v83, 0x2000, v120
	v_add_u32_e32 v81, 0x2800, v120
	v_add_u32_e32 v100, 0x3800, v120
	v_mad_i32_i24 v0, v193, s6, v195
	v_mad_i32_i24 v1, v194, s6, v196
	v_add_u32_e32 v82, 0xc00, v120
	v_add_u32_e32 v116, 0x1800, v120
	;; [unrolled: 1-line block ×5, first 2 shown]
	v_add_f64 v[210:211], v[8:9], v[16:17]
	v_add_f64 v[212:213], v[2:3], v[18:19]
	v_add_f64 v[126:127], v[8:9], -v[16:17]
	v_add_f64 v[136:137], v[2:3], -v[18:19]
	v_add_f64 v[146:147], v[10:11], v[4:5]
	v_add_f64 v[148:149], v[6:7], v[24:25]
	;; [unrolled: 1-line block ×5, first 2 shown]
	v_add_f64 v[180:181], v[4:5], -v[10:11]
	v_add_f64 v[182:183], v[6:7], -v[24:25]
	;; [unrolled: 1-line block ×5, first 2 shown]
	s_waitcnt lgkmcnt(0)
	; wave barrier
	s_waitcnt lgkmcnt(0)
	ds_read2_b64 v[4:7], v120 offset1:180
	ds_read2_b64 v[76:79], v80 offset0:104 offset1:164
	ds_read2_b64 v[72:75], v86 offset0:80 offset1:140
	ds_read2_b64 v[60:63], v83 offset0:56 offset1:116
	ds_read2_b64 v[56:59], v81 offset0:160 offset1:220
	ds_read2_b64 v[52:55], v100 offset0:8 offset1:68
	ds_read_b64 v[68:69], v0
	ds_read_b64 v[64:65], v1
	ds_read2_b64 v[48:51], v82 offset0:96 offset1:156
	ds_read2_b64 v[40:43], v116 offset0:72 offset1:132
	;; [unrolled: 1-line block ×10, first 2 shown]
	v_add_u32_e32 v8, 0x3c00, v120
	ds_read2_b64 v[8:11], v8 offset0:120 offset1:180
	v_add_u32_e32 v87, 0xb4, v192
	v_mul_i32_i24_e32 v88, 0xffffffb8, v193
	v_mul_i32_i24_e32 v89, 0xffffffb8, v194
	s_waitcnt lgkmcnt(0)
	; wave barrier
	s_waitcnt lgkmcnt(0)
	ds_write_b128 v197, v[44:47]
	ds_write_b128 v197, v[164:167] offset:16
	ds_write_b128 v197, v[198:201] offset:32
	ds_write_b128 v197, v[202:205] offset:48
	ds_write_b128 v197, v[206:209] offset:64
	ds_write_b128 v195, v[90:93]
	ds_write_b128 v195, v[210:213] offset:16
	ds_write_b128 v195, v[214:217] offset:32
	ds_write_b128 v195, v[124:127] offset:48
	ds_write_b128 v195, v[136:139] offset:64
	;; [unrolled: 5-line block ×3, first 2 shown]
	s_and_saveexec_b64 s[6:7], s[0:1]
	s_cbranch_execz .LBB0_19
; %bb.18:
	v_add_f64 v[44:45], v[134:135], v[110:111]
	v_add_f64 v[46:47], v[98:99], v[70:71]
	;; [unrolled: 1-line block ×3, first 2 shown]
	v_add_f64 v[90:91], v[96:97], -v[152:153]
	s_mov_b32 s0, 0x134454ff
	s_mov_b32 s1, 0x3fee6f0e
	v_add_f64 v[92:93], v[108:109], -v[132:133]
	v_add_f64 v[66:67], v[94:95], v[66:67]
	v_fma_f64 v[44:45], v[44:45], -0.5, v[70:71]
	v_add_f64 v[46:47], v[110:111], v[46:47]
	v_fma_f64 v[70:71], v[101:102], -0.5, v[70:71]
	v_add_f64 v[96:97], v[98:99], -v[110:111]
	v_add_f64 v[108:109], v[154:155], -v[134:135]
	s_mov_b32 s8, 0x4755a5e
	s_mov_b32 s17, 0xbfee6f0e
	;; [unrolled: 1-line block ×3, first 2 shown]
	v_fma_f64 v[114:115], v[90:91], s[0:1], v[44:45]
	s_mov_b32 s9, 0x3fe2cf23
	v_add_f64 v[46:47], v[134:135], v[46:47]
	v_fma_f64 v[101:102], v[92:93], s[16:17], v[70:71]
	v_fma_f64 v[70:71], v[92:93], s[0:1], v[70:71]
	v_add_f64 v[66:67], v[106:107], v[66:67]
	v_add_f64 v[98:99], v[110:111], -v[98:99]
	v_add_f64 v[94:95], v[108:109], v[96:97]
	v_fma_f64 v[96:97], v[92:93], s[8:9], v[114:115]
	v_fma_f64 v[44:45], v[90:91], s[16:17], v[44:45]
	v_add_f64 v[108:109], v[134:135], -v[154:155]
	s_mov_b32 s14, 0x372fe950
	s_mov_b32 s19, 0xbfe2cf23
	;; [unrolled: 1-line block ×4, first 2 shown]
	v_add_f64 v[106:107], v[154:155], v[46:47]
	v_fma_f64 v[46:47], v[90:91], s[8:9], v[101:102]
	v_fma_f64 v[70:71], v[90:91], s[18:19], v[70:71]
	v_add_f64 v[66:67], v[122:123], v[66:67]
	v_mul_f64 v[90:91], v[176:177], s[8:9]
	s_mov_b32 s16, 0x9b97f4a8
	v_fma_f64 v[110:111], v[94:95], s[14:15], v[96:97]
	v_fma_f64 v[44:45], v[92:93], s[18:19], v[44:45]
	v_add_f64 v[92:93], v[108:109], v[98:99]
	s_mov_b32 s17, 0x3fe9e377
	v_mul_f64 v[96:97], v[170:171], s[0:1]
	v_mul_f64 v[98:99], v[172:173], s[14:15]
	;; [unrolled: 1-line block ×3, first 2 shown]
	v_add_f64 v[66:67], v[118:119], v[66:67]
	v_fma_f64 v[118:119], v[128:129], s[16:17], v[90:91]
	v_fma_f64 v[114:115], v[94:95], s[14:15], v[44:45]
	;; [unrolled: 1-line block ×5, first 2 shown]
	v_fma_f64 v[98:99], v[112:113], s[0:1], -v[98:99]
	v_fma_f64 v[84:85], v[84:85], s[8:9], -v[101:102]
	v_add_f64 v[44:45], v[66:67], v[106:107]
	v_add_f64 v[46:47], v[110:111], v[118:119]
	v_add_f64 v[96:97], v[106:107], -v[66:67]
	v_add_f64 v[106:107], v[110:111], -v[118:119]
	v_mul_u32_u24_e32 v66, 10, v87
	v_add_f64 v[90:91], v[108:109], v[122:123]
	v_add_f64 v[92:93], v[70:71], v[98:99]
	;; [unrolled: 1-line block ×3, first 2 shown]
	v_add_f64 v[108:109], v[108:109], -v[122:123]
	v_add_f64 v[110:111], v[70:71], -v[98:99]
	;; [unrolled: 1-line block ×3, first 2 shown]
	v_lshl_add_u32 v66, v66, 3, 0
	ds_write_b128 v66, v[44:47]
	ds_write_b128 v66, v[90:93] offset:16
	ds_write_b128 v66, v[94:97] offset:32
	;; [unrolled: 1-line block ×4, first 2 shown]
.LBB0_19:
	s_or_b64 exec, exec, s[6:7]
	s_movk_i32 s0, 0xcd
	v_mul_lo_u16_sdwa v44, v192, s0 dst_sel:DWORD dst_unused:UNUSED_PAD src0_sel:BYTE_0 src1_sel:DWORD
	v_lshrrev_b16_e32 v103, 11, v44
	v_mul_lo_u16_e32 v44, 10, v103
	v_sub_u16_e32 v44, v192, v44
	v_mov_b32_e32 v70, 5
	s_waitcnt lgkmcnt(0)
	; wave barrier
	s_waitcnt lgkmcnt(0)
	buffer_store_dword v44, off, s[36:39], 0 ; 4-byte Folded Spill
	v_mul_u32_u24_sdwa v44, v44, v70 dst_sel:DWORD dst_unused:UNUSED_PAD src0_sel:BYTE_0 src1_sel:DWORD
	v_lshlrev_b32_e32 v44, 4, v44
	global_load_dwordx4 v[94:97], v44, s[12:13]
	global_load_dwordx4 v[106:109], v44, s[12:13] offset:16
	global_load_dwordx4 v[122:125], v44, s[12:13] offset:48
	;; [unrolled: 1-line block ×3, first 2 shown]
	v_mul_lo_u16_sdwa v45, v193, s0 dst_sel:DWORD dst_unused:UNUSED_PAD src0_sel:BYTE_0 src1_sel:DWORD
	v_lshrrev_b16_e32 v84, 11, v45
	v_mul_lo_u16_e32 v45, 10, v84
	v_sub_u16_e32 v85, v193, v45
	v_mul_u32_u24_sdwa v45, v85, v70 dst_sel:DWORD dst_unused:UNUSED_PAD src0_sel:BYTE_0 src1_sel:DWORD
	v_lshlrev_b32_e32 v71, 4, v45
	global_load_dwordx4 v[130:133], v71, s[12:13]
	global_load_dwordx4 v[134:137], v71, s[12:13] offset:16
	global_load_dwordx4 v[138:141], v71, s[12:13] offset:32
	;; [unrolled: 1-line block ×3, first 2 shown]
	ds_read2_b64 v[44:47], v120 offset1:180
	ds_read2_b64 v[146:149], v80 offset0:104 offset1:164
	ds_read2_b64 v[150:153], v86 offset0:80 offset1:140
	;; [unrolled: 1-line block ×4, first 2 shown]
	global_load_dwordx4 v[168:171], v71, s[12:13] offset:48
	global_load_dwordx4 v[176:179], v71, s[12:13] offset:64
	v_add_u32_e32 v121, v195, v88
	v_mul_lo_u16_sdwa v88, v194, s0 dst_sel:DWORD dst_unused:UNUSED_PAD src0_sel:BYTE_0 src1_sel:DWORD
	v_lshrrev_b16_e32 v88, 11, v88
	buffer_store_dword v193, off, s[36:39], 0 offset:4 ; 4-byte Folded Spill
	v_add_u32_e32 v193, v196, v89
	v_mul_lo_u16_e32 v89, 10, v88
	v_sub_u16_e32 v89, v194, v89
	v_mul_u32_u24_sdwa v91, v89, v70 dst_sel:DWORD dst_unused:UNUSED_PAD src0_sel:BYTE_0 src1_sel:DWORD
	v_lshlrev_b32_e32 v71, 4, v91
	ds_read2_b64 v[172:175], v100 offset0:8 offset1:68
	global_load_dwordx4 v[180:183], v71, s[12:13] offset:16
	global_load_dwordx4 v[184:187], v71, s[12:13]
	v_mul_lo_u16_sdwa v90, v87, s0 dst_sel:DWORD dst_unused:UNUSED_PAD src0_sel:BYTE_0 src1_sel:DWORD
	v_lshrrev_b16_e32 v90, 11, v90
	v_mul_lo_u16_e32 v91, 10, v90
	v_sub_u16_e32 v91, v87, v91
	v_mul_u32_u24_sdwa v70, v91, v70 dst_sel:DWORD dst_unused:UNUSED_PAD src0_sel:BYTE_0 src1_sel:DWORD
	v_lshlrev_b32_e32 v70, 4, v70
	global_load_dwordx4 v[188:191], v71, s[12:13] offset:64
	global_load_dwordx4 v[195:198], v70, s[12:13]
	ds_read2_b64 v[199:202], v82 offset0:96 offset1:156
	ds_read2_b64 v[203:206], v116 offset0:72 offset1:132
	;; [unrolled: 1-line block ×5, first 2 shown]
	global_load_dwordx4 v[219:222], v71, s[12:13] offset:48
	global_load_dwordx4 v[223:226], v71, s[12:13] offset:32
	ds_read_b64 v[101:102], v121
	ds_read_b64 v[110:111], v193
	global_load_dwordx4 v[227:230], v70, s[12:13] offset:32
	global_load_dwordx4 v[231:234], v70, s[12:13] offset:16
	v_add_u32_e32 v67, 0xf0, v192
	s_mov_b32 s0, 0xcccd
	v_mul_u32_u24_sdwa v71, v67, s0 dst_sel:DWORD dst_unused:UNUSED_PAD src0_sel:WORD_0 src1_sel:DWORD
	v_lshrrev_b32_e32 v92, 19, v71
	v_mul_lo_u16_e32 v71, 10, v92
	v_sub_u16_e32 v93, v67, v71
	v_mul_u32_u24_e32 v71, 5, v93
	v_lshlrev_b32_e32 v86, 4, v71
	global_load_dwordx4 v[235:238], v70, s[12:13] offset:48
	global_load_dwordx4 v[239:242], v70, s[12:13] offset:64
	v_add_u32_e32 v255, 0x12c, v192
	v_add_u32_e32 v66, 0x3c00, v120
	s_mov_b32 s7, 0x3febb67a
	s_movk_i32 s8, 0x89
	s_waitcnt vmcnt(20) lgkmcnt(11)
	v_mul_f64 v[114:115], v[146:147], v[96:97]
	s_waitcnt vmcnt(19) lgkmcnt(10)
	v_mul_f64 v[158:159], v[150:151], v[108:109]
	v_mul_f64 v[108:109], v[72:73], v[108:109]
	s_waitcnt vmcnt(17) lgkmcnt(9)
	v_mul_f64 v[247:248], v[154:155], v[128:129]
	v_mul_f64 v[118:119], v[76:77], v[96:97]
	global_load_dwordx4 v[96:99], v86, s[12:13] offset:16
	global_load_dwordx4 v[243:246], v86, s[12:13]
	v_mul_f64 v[128:129], v[60:61], v[128:129]
	v_fma_f64 v[114:115], v[76:77], v[94:95], v[114:115]
	s_waitcnt vmcnt(18)
	v_mul_f64 v[76:77], v[148:149], v[132:133]
	v_fma_f64 v[249:250], v[150:151], v[106:107], -v[108:109]
	s_waitcnt vmcnt(16)
	v_mul_f64 v[108:109], v[156:157], v[140:141]
	v_fma_f64 v[158:159], v[72:73], v[106:107], v[158:159]
	v_mul_f64 v[72:73], v[78:79], v[132:133]
	v_mul_f64 v[106:107], v[152:153], v[136:137]
	v_fma_f64 v[247:248], v[60:61], v[126:127], v[247:248]
	v_mul_f64 v[60:61], v[74:75], v[136:137]
	v_fma_f64 v[251:252], v[78:79], v[130:131], v[76:77]
	v_fma_f64 v[94:95], v[146:147], v[94:95], -v[118:119]
	v_fma_f64 v[70:71], v[62:63], v[138:139], v[108:109]
	v_mul_f64 v[62:63], v[62:63], v[140:141]
	v_fma_f64 v[253:254], v[148:149], v[130:131], -v[72:73]
	v_fma_f64 v[112:113], v[74:75], v[134:135], v[106:107]
	global_load_dwordx4 v[72:75], v86, s[12:13] offset:48
	global_load_dwordx4 v[76:79], v86, s[12:13] offset:32
	v_fma_f64 v[152:153], v[152:153], v[134:135], -v[60:61]
	v_mul_u32_u24_sdwa v60, v255, s0 dst_sel:DWORD dst_unused:UNUSED_PAD src0_sel:WORD_0 src1_sel:DWORD
	v_lshrrev_b32_e32 v60, 19, v60
	v_mul_lo_u16_e32 v61, 10, v60
	v_sub_u16_e32 v61, v255, v61
	s_waitcnt lgkmcnt(8)
	v_mul_f64 v[118:119], v[164:165], v[124:125]
	v_mul_f64 v[136:137], v[56:57], v[124:125]
	v_mul_u32_u24_e32 v124, 5, v61
	global_load_dwordx4 v[106:109], v86, s[12:13] offset:64
	v_lshlrev_b32_e32 v86, 4, v124
	v_fma_f64 v[154:155], v[154:155], v[126:127], -v[128:129]
	global_load_dwordx4 v[124:127], v86, s[12:13]
	v_fma_f64 v[62:63], v[156:157], v[138:139], -v[62:63]
	s_waitcnt vmcnt(18)
	v_mul_f64 v[138:139], v[166:167], v[170:171]
	global_load_dwordx4 v[128:131], v86, s[12:13] offset:32
	global_load_dwordx4 v[132:135], v86, s[12:13] offset:16
	s_waitcnt lgkmcnt(7)
	v_mul_f64 v[146:147], v[172:173], v[144:145]
	v_fma_f64 v[118:119], v[56:57], v[122:123], v[118:119]
	v_fma_f64 v[122:123], v[164:165], v[122:123], -v[136:137]
	v_mul_f64 v[140:141], v[58:59], v[170:171]
	s_waitcnt vmcnt(19)
	v_mul_f64 v[148:149], v[54:55], v[178:179]
	s_waitcnt vmcnt(16) lgkmcnt(6)
	v_mul_f64 v[150:151], v[199:200], v[186:187]
	v_fma_f64 v[164:165], v[58:59], v[168:169], v[138:139]
	global_load_dwordx4 v[136:139], v86, s[12:13] offset:48
	v_fma_f64 v[156:157], v[52:53], v[142:143], v[146:147]
	v_mul_f64 v[52:53], v[52:53], v[144:145]
	global_load_dwordx4 v[144:147], v86, s[12:13] offset:64
	v_fma_f64 v[166:167], v[166:167], v[168:169], -v[140:141]
	v_mul_f64 v[140:141], v[174:175], v[178:179]
	v_mul_f64 v[178:179], v[40:41], v[182:183]
	s_mov_b32 s0, 0xe8584caa
	s_mov_b32 s1, 0xbfebb67a
	;; [unrolled: 1-line block ×3, first 2 shown]
	v_fma_f64 v[168:169], v[172:173], v[142:143], -v[52:53]
	v_mul_f64 v[142:143], v[48:49], v[186:187]
	v_fma_f64 v[172:173], v[174:175], v[176:177], -v[148:149]
	v_fma_f64 v[170:171], v[54:55], v[176:177], v[140:141]
	v_fma_f64 v[174:175], v[48:49], v[184:185], v[150:151]
	s_waitcnt lgkmcnt(5)
	v_mul_f64 v[150:151], v[203:204], v[182:183]
	s_waitcnt vmcnt(14)
	v_mul_f64 v[186:187], v[36:37], v[225:226]
	v_mul_f64 v[148:149], v[201:202], v[197:198]
	;; [unrolled: 1-line block ×3, first 2 shown]
	v_fma_f64 v[176:177], v[199:200], v[184:185], -v[142:143]
	s_waitcnt lgkmcnt(4)
	v_mul_f64 v[184:185], v[207:208], v[225:226]
	v_fma_f64 v[178:179], v[203:204], v[180:181], -v[178:179]
	v_mul_f64 v[199:200], v[32:33], v[221:222]
	v_fma_f64 v[197:198], v[40:41], v[180:181], v[150:151]
	s_waitcnt vmcnt(12)
	v_mul_f64 v[180:181], v[42:43], v[233:234]
	ds_read2_b64 v[140:143], v116 offset0:192 offset1:252
	v_mul_f64 v[40:41], v[205:206], v[233:234]
	s_waitcnt lgkmcnt(3)
	v_mul_f64 v[203:204], v[215:216], v[190:191]
	v_fma_f64 v[36:37], v[36:37], v[223:224], v[184:185]
	v_fma_f64 v[184:185], v[207:208], v[223:224], -v[186:187]
	v_mul_f64 v[186:187], v[211:212], v[221:222]
	v_mul_f64 v[207:208], v[38:39], v[229:230]
	v_fma_f64 v[180:181], v[205:206], v[231:232], -v[180:181]
	v_mul_f64 v[205:206], v[209:210], v[229:230]
	v_fma_f64 v[182:183], v[50:51], v[195:196], v[148:149]
	ds_read2_b64 v[148:151], v117 offset0:144 offset1:204
	v_mul_f64 v[190:191], v[28:29], v[190:191]
	v_fma_f64 v[28:29], v[28:29], v[188:189], v[203:204]
	v_fma_f64 v[32:33], v[32:33], v[219:220], v[186:187]
	v_fma_f64 v[186:187], v[211:212], v[219:220], -v[199:200]
	s_waitcnt vmcnt(9) lgkmcnt(1)
	v_mul_f64 v[211:212], v[140:141], v[98:99]
	v_mul_f64 v[98:99], v[20:21], v[98:99]
	;; [unrolled: 1-line block ×3, first 2 shown]
	v_fma_f64 v[38:39], v[38:39], v[227:228], v[205:206]
	v_fma_f64 v[203:204], v[209:210], v[227:228], -v[207:208]
	v_mul_f64 v[205:206], v[217:218], v[241:242]
	v_mul_f64 v[207:208], v[30:31], v[241:242]
	ds_read2_b64 v[52:55], v104 offset0:88 offset1:148
	v_fma_f64 v[20:21], v[20:21], v[96:97], v[211:212]
	v_fma_f64 v[96:97], v[140:141], v[96:97], -v[98:99]
	v_fma_f64 v[195:196], v[201:202], v[195:196], -v[48:49]
	ds_read2_b64 v[48:51], v81 offset0:40 offset1:100
	v_fma_f64 v[201:202], v[42:43], v[231:232], v[40:41]
	ds_read2_b64 v[40:43], v66 offset0:120 offset1:180
	v_fma_f64 v[188:189], v[215:216], v[188:189], -v[190:191]
	v_mul_f64 v[190:191], v[34:35], v[237:238]
	s_waitcnt vmcnt(7) lgkmcnt(3)
	v_mul_f64 v[98:99], v[148:149], v[74:75]
	v_mul_f64 v[74:75], v[12:13], v[74:75]
	v_fma_f64 v[34:35], v[34:35], v[235:236], v[199:200]
	s_waitcnt lgkmcnt(2)
	v_mul_f64 v[199:200], v[52:53], v[245:246]
	v_fma_f64 v[30:31], v[30:31], v[239:240], v[205:206]
	v_fma_f64 v[205:206], v[217:218], v[239:240], -v[207:208]
	s_waitcnt vmcnt(6) lgkmcnt(1)
	v_mul_f64 v[207:208], v[48:49], v[78:79]
	v_mul_f64 v[78:79], v[16:17], v[78:79]
	v_fma_f64 v[12:13], v[12:13], v[72:73], v[98:99]
	v_fma_f64 v[72:73], v[148:149], v[72:73], -v[74:75]
	s_waitcnt vmcnt(5) lgkmcnt(0)
	v_mul_f64 v[140:141], v[40:41], v[108:109]
	v_mul_f64 v[108:109], v[8:9], v[108:109]
	;; [unrolled: 1-line block ×3, first 2 shown]
	v_fma_f64 v[24:25], v[24:25], v[243:244], v[199:200]
	v_fma_f64 v[16:17], v[16:17], v[76:77], v[207:208]
	s_waitcnt vmcnt(4)
	v_mul_f64 v[199:200], v[54:55], v[126:127]
	s_waitcnt vmcnt(2)
	v_mul_f64 v[74:75], v[142:143], v[134:135]
	v_fma_f64 v[48:49], v[48:49], v[76:77], -v[78:79]
	v_mul_f64 v[76:77], v[26:27], v[126:127]
	v_fma_f64 v[8:9], v[8:9], v[106:107], v[140:141]
	v_fma_f64 v[40:41], v[40:41], v[106:107], -v[108:109]
	v_mul_f64 v[78:79], v[22:23], v[134:135]
	v_mul_f64 v[98:99], v[18:19], v[130:131]
	v_fma_f64 v[26:27], v[26:27], v[124:125], v[199:200]
	v_fma_f64 v[22:23], v[22:23], v[132:133], v[74:75]
	s_waitcnt vmcnt(1)
	v_mul_f64 v[74:75], v[150:151], v[138:139]
	v_mul_f64 v[106:107], v[14:15], v[138:139]
	v_fma_f64 v[54:55], v[54:55], v[124:125], -v[76:77]
	v_mul_f64 v[76:77], v[50:51], v[130:131]
	s_waitcnt vmcnt(0)
	v_mul_f64 v[108:109], v[42:43], v[146:147]
	v_add_f64 v[124:125], v[158:159], v[118:119]
	v_fma_f64 v[50:51], v[50:51], v[128:129], -v[98:99]
	v_add_f64 v[126:127], v[247:248], -v[156:157]
	v_fma_f64 v[14:15], v[14:15], v[136:137], v[74:75]
	v_fma_f64 v[74:75], v[150:151], v[136:137], -v[106:107]
	v_add_f64 v[106:107], v[154:155], v[168:169]
	v_fma_f64 v[18:19], v[18:19], v[128:129], v[76:77]
	v_add_f64 v[76:77], v[4:5], v[158:159]
	v_fma_f64 v[98:99], v[10:11], v[144:145], v[108:109]
	v_fma_f64 v[4:5], v[124:125], -0.5, v[4:5]
	v_add_f64 v[108:109], v[249:250], -v[122:123]
	v_add_f64 v[124:125], v[247:248], v[156:157]
	v_fma_f64 v[78:79], v[142:143], v[132:133], -v[78:79]
	v_fma_f64 v[106:107], v[106:107], -0.5, v[94:95]
	v_add_f64 v[130:131], v[249:250], v[122:123]
	v_add_f64 v[132:133], v[154:155], -v[168:169]
	v_mul_f64 v[10:11], v[10:11], v[146:147]
	v_add_f64 v[76:77], v[76:77], v[118:119]
	v_fma_f64 v[128:129], v[108:109], s[0:1], v[4:5]
	v_fma_f64 v[124:125], v[124:125], -0.5, v[114:115]
	v_fma_f64 v[4:5], v[108:109], s[6:7], v[4:5]
	v_fma_f64 v[108:109], v[126:127], s[6:7], v[106:107]
	v_fma_f64 v[106:107], v[126:127], s[0:1], v[106:107]
	v_add_f64 v[114:115], v[114:115], v[247:248]
	v_add_f64 v[126:127], v[44:45], v[249:250]
	v_fma_f64 v[44:45], v[130:131], -0.5, v[44:45]
	v_add_f64 v[94:95], v[94:95], v[154:155]
	v_fma_f64 v[130:131], v[132:133], s[0:1], v[124:125]
	v_fma_f64 v[124:125], v[132:133], s[6:7], v[124:125]
	v_mul_f64 v[132:133], v[108:109], s[0:1]
	v_mul_f64 v[134:135], v[106:107], s[0:1]
	v_add_f64 v[114:115], v[114:115], v[156:157]
	v_add_f64 v[118:119], v[158:159], -v[118:119]
	v_add_f64 v[122:123], v[126:127], v[122:123]
	v_mul_f64 v[108:109], v[108:109], 0.5
	v_mul_f64 v[106:107], v[106:107], -0.5
	v_add_f64 v[94:95], v[94:95], v[168:169]
	v_fma_f64 v[132:133], v[130:131], 0.5, v[132:133]
	v_fma_f64 v[134:135], v[124:125], -0.5, v[134:135]
	v_fma_f64 v[10:11], v[42:43], v[144:145], -v[10:11]
	v_add_f64 v[42:43], v[76:77], v[114:115]
	v_add_f64 v[136:137], v[112:113], v[164:165]
	v_add_f64 v[76:77], v[76:77], -v[114:115]
	v_add_f64 v[114:115], v[62:63], v[172:173]
	v_fma_f64 v[126:127], v[118:119], s[6:7], v[44:45]
	v_fma_f64 v[44:45], v[118:119], s[0:1], v[44:45]
	;; [unrolled: 1-line block ×4, first 2 shown]
	v_add_f64 v[118:119], v[128:129], v[132:133]
	v_add_f64 v[124:125], v[4:5], v[134:135]
	;; [unrolled: 1-line block ×3, first 2 shown]
	v_add_f64 v[128:129], v[128:129], -v[132:133]
	v_add_f64 v[4:5], v[4:5], -v[134:135]
	v_add_f64 v[132:133], v[68:69], v[112:113]
	v_fma_f64 v[68:69], v[136:137], -0.5, v[68:69]
	v_add_f64 v[134:135], v[152:153], -v[166:167]
	v_add_f64 v[136:137], v[70:71], v[170:171]
	v_add_f64 v[122:123], v[122:123], -v[94:95]
	v_fma_f64 v[94:95], v[114:115], -0.5, v[253:254]
	v_add_f64 v[114:115], v[70:71], -v[170:171]
	v_add_f64 v[138:139], v[126:127], v[108:109]
	v_add_f64 v[108:109], v[126:127], -v[108:109]
	v_add_f64 v[126:127], v[132:133], v[164:165]
	v_add_f64 v[132:133], v[152:153], v[166:167]
	v_fma_f64 v[142:143], v[134:135], s[0:1], v[68:69]
	v_fma_f64 v[136:137], v[136:137], -0.5, v[251:252]
	v_add_f64 v[144:145], v[62:63], -v[172:173]
	v_fma_f64 v[68:69], v[134:135], s[6:7], v[68:69]
	v_fma_f64 v[134:135], v[114:115], s[6:7], v[94:95]
	v_fma_f64 v[94:95], v[114:115], s[0:1], v[94:95]
	v_add_f64 v[70:71], v[251:252], v[70:71]
	v_add_f64 v[114:115], v[101:102], v[152:153]
	v_fma_f64 v[101:102], v[132:133], -0.5, v[101:102]
	v_add_f64 v[62:63], v[253:254], v[62:63]
	v_fma_f64 v[132:133], v[144:145], s[0:1], v[136:137]
	v_fma_f64 v[136:137], v[144:145], s[6:7], v[136:137]
	v_mul_f64 v[144:145], v[134:135], s[0:1]
	v_mul_f64 v[146:147], v[94:95], s[0:1]
	v_add_f64 v[70:71], v[70:71], v[170:171]
	v_add_f64 v[140:141], v[44:45], v[106:107]
	v_add_f64 v[112:113], v[112:113], -v[164:165]
	v_add_f64 v[114:115], v[114:115], v[166:167]
	v_mul_f64 v[134:135], v[134:135], 0.5
	v_mul_f64 v[94:95], v[94:95], -0.5
	v_fma_f64 v[144:145], v[132:133], 0.5, v[144:145]
	v_fma_f64 v[146:147], v[136:137], -0.5, v[146:147]
	v_add_f64 v[62:63], v[62:63], v[172:173]
	v_add_f64 v[106:107], v[44:45], -v[106:107]
	v_add_f64 v[44:45], v[126:127], v[70:71]
	v_add_f64 v[150:151], v[197:198], v[32:33]
	v_add_f64 v[70:71], v[126:127], -v[70:71]
	v_add_f64 v[126:127], v[184:185], v[188:189]
	v_fma_f64 v[148:149], v[112:113], s[6:7], v[101:102]
	v_fma_f64 v[101:102], v[112:113], s[0:1], v[101:102]
	;; [unrolled: 1-line block ×4, first 2 shown]
	v_add_f64 v[132:133], v[142:143], v[144:145]
	v_add_f64 v[134:135], v[68:69], v[146:147]
	;; [unrolled: 1-line block ×3, first 2 shown]
	v_add_f64 v[142:143], v[142:143], -v[144:145]
	v_add_f64 v[68:69], v[68:69], -v[146:147]
	v_add_f64 v[144:145], v[64:65], v[197:198]
	v_fma_f64 v[64:65], v[150:151], -0.5, v[64:65]
	v_add_f64 v[146:147], v[178:179], -v[186:187]
	v_add_f64 v[150:151], v[36:37], v[28:29]
	v_add_f64 v[62:63], v[114:115], -v[62:63]
	v_fma_f64 v[114:115], v[126:127], -0.5, v[176:177]
	v_add_f64 v[126:127], v[36:37], -v[28:29]
	v_add_f64 v[152:153], v[148:149], v[112:113]
	v_add_f64 v[112:113], v[148:149], -v[112:113]
	v_add_f64 v[148:149], v[178:179], v[186:187]
	v_fma_f64 v[156:157], v[146:147], s[0:1], v[64:65]
	v_fma_f64 v[150:151], v[150:151], -0.5, v[174:175]
	v_add_f64 v[158:159], v[184:185], -v[188:189]
	v_fma_f64 v[64:65], v[146:147], s[6:7], v[64:65]
	v_fma_f64 v[146:147], v[126:127], s[6:7], v[114:115]
	;; [unrolled: 1-line block ×3, first 2 shown]
	v_add_f64 v[36:37], v[174:175], v[36:37]
	v_add_f64 v[144:145], v[144:145], v[32:33]
	;; [unrolled: 1-line block ×3, first 2 shown]
	v_fma_f64 v[110:111], v[148:149], -0.5, v[110:111]
	v_fma_f64 v[148:149], v[158:159], s[0:1], v[150:151]
	v_fma_f64 v[150:151], v[158:159], s[6:7], v[150:151]
	v_mul_f64 v[158:159], v[146:147], s[0:1]
	v_mul_f64 v[164:165], v[114:115], s[0:1]
	v_add_f64 v[166:167], v[176:177], v[184:185]
	v_add_f64 v[28:29], v[36:37], v[28:29]
	v_fma_f64 v[190:191], v[213:214], v[235:236], -v[190:191]
	v_add_f64 v[154:155], v[101:102], v[94:95]
	v_add_f64 v[32:33], v[197:198], -v[32:33]
	v_add_f64 v[126:127], v[126:127], v[186:187]
	v_mul_f64 v[146:147], v[146:147], 0.5
	v_mul_f64 v[114:115], v[114:115], -0.5
	v_fma_f64 v[36:37], v[148:149], 0.5, v[158:159]
	v_fma_f64 v[158:159], v[150:151], -0.5, v[164:165]
	v_add_f64 v[164:165], v[166:167], v[188:189]
	v_add_f64 v[101:102], v[101:102], -v[94:95]
	v_add_f64 v[94:95], v[144:145], v[28:29]
	v_add_f64 v[166:167], v[201:202], v[34:35]
	v_add_f64 v[28:29], v[144:145], -v[28:29]
	v_add_f64 v[144:145], v[203:204], v[205:206]
	v_fma_f64 v[168:169], v[32:33], s[6:7], v[110:111]
	v_fma_f64 v[32:33], v[32:33], s[0:1], v[110:111]
	;; [unrolled: 1-line block ×4, first 2 shown]
	v_add_f64 v[146:147], v[156:157], v[36:37]
	v_add_f64 v[148:149], v[64:65], v[158:159]
	;; [unrolled: 1-line block ×3, first 2 shown]
	v_add_f64 v[36:37], v[156:157], -v[36:37]
	v_add_f64 v[64:65], v[64:65], -v[158:159]
	v_add_f64 v[156:157], v[6:7], v[201:202]
	v_fma_f64 v[6:7], v[166:167], -0.5, v[6:7]
	v_add_f64 v[158:159], v[180:181], -v[190:191]
	v_add_f64 v[166:167], v[38:39], v[30:31]
	v_add_f64 v[126:127], v[126:127], -v[164:165]
	v_fma_f64 v[144:145], v[144:145], -0.5, v[195:196]
	v_add_f64 v[164:165], v[38:39], -v[30:31]
	v_add_f64 v[170:171], v[168:169], v[110:111]
	v_add_f64 v[110:111], v[168:169], -v[110:111]
	v_add_f64 v[168:169], v[180:181], v[190:191]
	v_fma_f64 v[174:175], v[158:159], s[0:1], v[6:7]
	v_fma_f64 v[166:167], v[166:167], -0.5, v[182:183]
	v_add_f64 v[176:177], v[203:204], -v[205:206]
	v_fma_f64 v[6:7], v[158:159], s[6:7], v[6:7]
	v_fma_f64 v[158:159], v[164:165], s[6:7], v[144:145]
	;; [unrolled: 1-line block ×3, first 2 shown]
	v_add_f64 v[38:39], v[182:183], v[38:39]
	v_add_f64 v[156:157], v[156:157], v[34:35]
	;; [unrolled: 1-line block ×3, first 2 shown]
	v_fma_f64 v[46:47], v[168:169], -0.5, v[46:47]
	v_fma_f64 v[168:169], v[176:177], s[0:1], v[166:167]
	v_fma_f64 v[166:167], v[176:177], s[6:7], v[166:167]
	v_mul_f64 v[176:177], v[158:159], s[0:1]
	v_mul_f64 v[178:179], v[144:145], s[0:1]
	v_add_f64 v[180:181], v[195:196], v[203:204]
	v_add_f64 v[30:31], v[38:39], v[30:31]
	v_fma_f64 v[52:53], v[52:53], v[243:244], -v[209:210]
	v_add_f64 v[172:173], v[32:33], v[114:115]
	v_add_f64 v[34:35], v[201:202], -v[34:35]
	v_add_f64 v[164:165], v[164:165], v[190:191]
	v_mul_f64 v[158:159], v[158:159], 0.5
	v_mul_f64 v[144:145], v[144:145], -0.5
	v_fma_f64 v[38:39], v[168:169], 0.5, v[176:177]
	v_fma_f64 v[176:177], v[166:167], -0.5, v[178:179]
	v_add_f64 v[178:179], v[180:181], v[205:206]
	v_add_f64 v[114:115], v[32:33], -v[114:115]
	v_add_f64 v[32:33], v[156:157], v[30:31]
	v_add_f64 v[180:181], v[20:21], v[12:13]
	v_add_f64 v[30:31], v[156:157], -v[30:31]
	v_add_f64 v[156:157], v[48:49], v[40:41]
	v_fma_f64 v[182:183], v[34:35], s[6:7], v[46:47]
	v_fma_f64 v[34:35], v[34:35], s[0:1], v[46:47]
	;; [unrolled: 1-line block ×4, first 2 shown]
	v_add_f64 v[158:159], v[174:175], v[38:39]
	v_add_f64 v[166:167], v[6:7], v[176:177]
	v_add_f64 v[168:169], v[164:165], v[178:179]
	v_add_f64 v[38:39], v[174:175], -v[38:39]
	v_add_f64 v[6:7], v[6:7], -v[176:177]
	v_add_f64 v[174:175], v[0:1], v[20:21]
	v_fma_f64 v[0:1], v[180:181], -0.5, v[0:1]
	v_add_f64 v[176:177], v[96:97], -v[72:73]
	v_add_f64 v[180:181], v[16:17], v[8:9]
	v_add_f64 v[164:165], v[164:165], -v[178:179]
	v_fma_f64 v[156:157], v[156:157], -0.5, v[52:53]
	v_add_f64 v[178:179], v[16:17], -v[8:9]
	ds_read2_b64 v[56:59], v105 offset0:112 offset1:172
	v_add_f64 v[184:185], v[182:183], v[46:47]
	v_add_f64 v[182:183], v[182:183], -v[46:47]
	v_add_f64 v[46:47], v[174:175], v[12:13]
	v_add_f64 v[174:175], v[96:97], v[72:73]
	v_fma_f64 v[188:189], v[176:177], s[0:1], v[0:1]
	v_fma_f64 v[180:181], v[180:181], -0.5, v[24:25]
	v_add_f64 v[190:191], v[48:49], -v[40:41]
	v_fma_f64 v[0:1], v[176:177], s[6:7], v[0:1]
	v_fma_f64 v[176:177], v[178:179], s[6:7], v[156:157]
	;; [unrolled: 1-line block ×3, first 2 shown]
	s_waitcnt lgkmcnt(0)
	v_add_f64 v[96:97], v[56:57], v[96:97]
	v_add_f64 v[16:17], v[24:25], v[16:17]
	v_fma_f64 v[56:57], v[174:175], -0.5, v[56:57]
	v_add_f64 v[12:13], v[20:21], -v[12:13]
	v_fma_f64 v[20:21], v[190:191], s[0:1], v[180:181]
	v_fma_f64 v[24:25], v[190:191], s[6:7], v[180:181]
	v_mul_f64 v[174:175], v[176:177], s[0:1]
	v_mul_f64 v[178:179], v[156:157], s[0:1]
	v_add_f64 v[48:49], v[52:53], v[48:49]
	v_add_f64 v[52:53], v[96:97], v[72:73]
	v_mul_f64 v[96:97], v[156:157], -0.5
	v_add_f64 v[8:9], v[16:17], v[8:9]
	v_add_f64 v[186:187], v[34:35], v[144:145]
	v_mul_f64 v[72:73], v[176:177], 0.5
	v_fma_f64 v[156:157], v[12:13], s[6:7], v[56:57]
	v_fma_f64 v[16:17], v[20:21], 0.5, v[174:175]
	v_fma_f64 v[174:175], v[24:25], -0.5, v[178:179]
	v_add_f64 v[40:41], v[48:49], v[40:41]
	v_fma_f64 v[12:13], v[12:13], s[0:1], v[56:57]
	v_fma_f64 v[24:25], v[24:25], s[6:7], v[96:97]
	v_add_f64 v[56:57], v[34:35], -v[144:145]
	v_add_f64 v[34:35], v[46:47], v[8:9]
	v_add_f64 v[96:97], v[22:23], v[14:15]
	v_add_f64 v[8:9], v[46:47], -v[8:9]
	v_add_f64 v[46:47], v[50:51], v[10:11]
	v_fma_f64 v[20:21], v[20:21], s[6:7], v[72:73]
	v_add_f64 v[48:49], v[188:189], v[16:17]
	v_add_f64 v[72:73], v[0:1], v[174:175]
	;; [unrolled: 1-line block ×3, first 2 shown]
	v_add_f64 v[16:17], v[188:189], -v[16:17]
	v_add_f64 v[180:181], v[2:3], v[22:23]
	v_add_f64 v[0:1], v[0:1], -v[174:175]
	v_fma_f64 v[2:3], v[96:97], -0.5, v[2:3]
	v_add_f64 v[96:97], v[78:79], -v[74:75]
	v_add_f64 v[174:175], v[18:19], v[98:99]
	v_add_f64 v[188:189], v[52:53], -v[40:41]
	v_fma_f64 v[40:41], v[46:47], -0.5, v[54:55]
	v_add_f64 v[46:47], v[18:19], -v[98:99]
	v_add_f64 v[52:53], v[180:181], v[14:15]
	v_add_f64 v[180:181], v[58:59], v[78:79]
	;; [unrolled: 1-line block ×3, first 2 shown]
	v_fma_f64 v[190:191], v[96:97], s[0:1], v[2:3]
	v_fma_f64 v[174:175], v[174:175], -0.5, v[26:27]
	v_add_f64 v[195:196], v[50:51], -v[10:11]
	v_fma_f64 v[2:3], v[96:97], s[6:7], v[2:3]
	v_fma_f64 v[96:97], v[46:47], s[6:7], v[40:41]
	;; [unrolled: 1-line block ×3, first 2 shown]
	v_add_f64 v[46:47], v[180:181], v[74:75]
	v_fma_f64 v[58:59], v[78:79], -0.5, v[58:59]
	v_add_f64 v[14:15], v[22:23], -v[14:15]
	v_add_f64 v[18:19], v[26:27], v[18:19]
	v_fma_f64 v[22:23], v[195:196], s[0:1], v[174:175]
	v_fma_f64 v[26:27], v[195:196], s[6:7], v[174:175]
	v_mul_f64 v[74:75], v[96:97], s[0:1]
	v_mul_f64 v[78:79], v[40:41], s[0:1]
	v_mul_f64 v[40:41], v[40:41], -0.5
	v_add_f64 v[50:51], v[54:55], v[50:51]
	v_mul_f64 v[54:55], v[96:97], 0.5
	v_fma_f64 v[96:97], v[14:15], s[6:7], v[58:59]
	v_fma_f64 v[14:15], v[14:15], s[0:1], v[58:59]
	v_fma_f64 v[58:59], v[22:23], 0.5, v[74:75]
	v_fma_f64 v[74:75], v[26:27], -0.5, v[78:79]
	v_fma_f64 v[26:27], v[26:27], s[6:7], v[40:41]
	; wave barrier
	v_fma_f64 v[22:23], v[22:23], s[6:7], v[54:55]
	v_add_f64 v[18:19], v[18:19], v[98:99]
	v_add_f64 v[178:179], v[12:13], v[24:25]
	;; [unrolled: 1-line block ×3, first 2 shown]
	v_add_f64 v[12:13], v[12:13], -v[24:25]
	v_add_f64 v[24:25], v[190:191], v[58:59]
	v_add_f64 v[195:196], v[14:15], v[26:27]
	v_add_f64 v[14:15], v[14:15], -v[26:27]
	buffer_load_dword v26, off, s[36:39], 0 ; 4-byte Folded Reload
	v_add_f64 v[180:181], v[96:97], v[22:23]
	v_add_f64 v[50:51], v[190:191], -v[58:59]
	v_add_f64 v[58:59], v[96:97], -v[22:23]
	v_mov_b32_e32 v23, 3
	v_mul_u32_u24_e32 v22, 0x1e0, v103
	v_add_f64 v[176:177], v[156:157], v[20:21]
	v_add_f64 v[156:157], v[156:157], -v[20:21]
	v_add_f64 v[20:21], v[52:53], v[18:19]
	v_add_f64 v[40:41], v[2:3], v[74:75]
	v_add_f64 v[18:19], v[52:53], -v[18:19]
	v_add_f64 v[2:3], v[2:3], -v[74:75]
	v_add_u32_e32 v103, 0x1400, v120
	v_add_f64 v[174:175], v[46:47], v[10:11]
	v_add_f64 v[10:11], v[46:47], -v[10:11]
	s_waitcnt vmcnt(0)
	v_lshlrev_b32_sdwa v26, v23, v26 dst_sel:DWORD dst_unused:UNUSED_PAD src0_sel:DWORD src1_sel:BYTE_0
	v_add3_u32 v86, 0, v22, v26
	ds_write2_b64 v86, v[42:43], v[118:119] offset1:10
	ds_write2_b64 v86, v[124:125], v[76:77] offset0:20 offset1:30
	ds_write2_b64 v86, v[128:129], v[4:5] offset0:40 offset1:50
	v_mul_u32_u24_e32 v4, 0x1e0, v84
	v_lshlrev_b32_sdwa v5, v23, v85 dst_sel:DWORD dst_unused:UNUSED_PAD src0_sel:DWORD src1_sel:BYTE_0
	v_add3_u32 v84, 0, v4, v5
	v_mul_u32_u24_e32 v4, 0x1e0, v88
	v_lshlrev_b32_sdwa v5, v23, v89 dst_sel:DWORD dst_unused:UNUSED_PAD src0_sel:DWORD src1_sel:BYTE_0
	v_add3_u32 v85, 0, v4, v5
	v_mul_u32_u24_e32 v4, 0x1e0, v90
	v_lshlrev_b32_sdwa v5, v23, v91 dst_sel:DWORD dst_unused:UNUSED_PAD src0_sel:DWORD src1_sel:BYTE_0
	ds_write2_b64 v84, v[44:45], v[132:133] offset1:10
	ds_write2_b64 v84, v[134:135], v[70:71] offset0:20 offset1:30
	ds_write2_b64 v84, v[142:143], v[68:69] offset0:40 offset1:50
	ds_write2_b64 v85, v[94:95], v[146:147] offset1:10
	ds_write2_b64 v85, v[148:149], v[28:29] offset0:20 offset1:30
	ds_write2_b64 v85, v[36:37], v[64:65] offset0:40 offset1:50
	v_add3_u32 v64, 0, v4, v5
	v_mul_u32_u24_e32 v4, 0x1e0, v92
	v_lshlrev_b32_e32 v5, 3, v93
	v_add3_u32 v65, 0, v4, v5
	ds_write2_b64 v64, v[32:33], v[158:159] offset1:10
	ds_write2_b64 v64, v[166:167], v[30:31] offset0:20 offset1:30
	ds_write2_b64 v64, v[38:39], v[6:7] offset0:40 offset1:50
	ds_write2_b64 v65, v[34:35], v[48:49] offset1:10
	ds_write2_b64 v65, v[72:73], v[8:9] offset0:20 offset1:30
	ds_write2_b64 v65, v[16:17], v[0:1] offset0:40 offset1:50
	v_mul_u32_u24_e32 v0, 0x1e0, v60
	v_lshlrev_b32_e32 v1, 3, v61
	v_add3_u32 v8, 0, v0, v1
	ds_write2_b64 v8, v[20:21], v[24:25] offset1:10
	ds_write2_b64 v8, v[40:41], v[18:19] offset0:20 offset1:30
	ds_write2_b64 v8, v[50:51], v[2:3] offset0:40 offset1:50
	s_waitcnt lgkmcnt(0)
	; wave barrier
	s_waitcnt lgkmcnt(0)
	ds_read2_b64 v[4:7], v120 offset1:180
	ds_read2_b64 v[68:71], v80 offset0:104 offset1:164
	ds_read2_b64 v[72:75], v103 offset0:80 offset1:140
	ds_read2_b64 v[76:79], v83 offset0:56 offset1:116
	ds_read2_b64 v[88:91], v81 offset0:160 offset1:220
	ds_read2_b64 v[92:95], v100 offset0:8 offset1:68
	ds_read_b64 v[54:55], v121
	ds_read_b64 v[52:53], v193
	ds_read2_b64 v[96:99], v82 offset0:96 offset1:156
	ds_read2_b64 v[48:51], v116 offset0:72 offset1:132
	;; [unrolled: 1-line block ×11, first 2 shown]
	s_waitcnt lgkmcnt(0)
	; wave barrier
	s_waitcnt lgkmcnt(0)
	ds_write2_b64 v86, v[130:131], v[138:139] offset1:10
	ds_write2_b64 v86, v[140:141], v[122:123] offset0:20 offset1:30
	ds_write2_b64 v86, v[108:109], v[106:107] offset0:40 offset1:50
	ds_write2_b64 v84, v[136:137], v[152:153] offset1:10
	ds_write2_b64 v84, v[154:155], v[62:63] offset0:20 offset1:30
	ds_write2_b64 v84, v[112:113], v[101:102] offset0:40 offset1:50
	;; [unrolled: 3-line block ×6, first 2 shown]
	v_mul_u32_u24_e32 v8, 5, v192
	v_lshlrev_b32_e32 v60, 4, v8
	s_waitcnt lgkmcnt(0)
	; wave barrier
	s_waitcnt lgkmcnt(0)
	global_load_dwordx4 v[106:109], v60, s[12:13] offset:800
	global_load_dwordx4 v[122:125], v60, s[12:13] offset:816
	;; [unrolled: 1-line block ×4, first 2 shown]
	v_mul_lo_u16_sdwa v12, v194, s8 dst_sel:DWORD dst_unused:UNUSED_PAD src0_sel:BYTE_0 src1_sel:DWORD
	v_lshrrev_b16_e32 v12, 13, v12
	v_mul_lo_u16_e32 v12, 60, v12
	v_sub_u16_e32 v12, v194, v12
	v_and_b32_e32 v61, 0xff, v12
	ds_read2_b64 v[8:11], v120 offset1:180
	ds_read2_b64 v[134:137], v80 offset0:104 offset1:164
	ds_read2_b64 v[138:141], v103 offset0:80 offset1:140
	;; [unrolled: 1-line block ×5, first 2 shown]
	global_load_dwordx4 v[154:157], v60, s[12:13] offset:864
	v_mul_u32_u24_e32 v12, 5, v61
	v_lshlrev_b32_e32 v65, 4, v12
	v_mul_lo_u16_sdwa v12, v87, s8 dst_sel:DWORD dst_unused:UNUSED_PAD src0_sel:BYTE_0 src1_sel:DWORD
	v_lshrrev_b16_e32 v12, 13, v12
	v_mul_lo_u16_e32 v12, 60, v12
	v_sub_u16_e32 v12, v87, v12
	v_and_b32_e32 v62, 0xff, v12
	v_mul_u32_u24_e32 v12, 5, v62
	v_lshlrev_b32_e32 v86, 4, v12
	ds_read_b64 v[58:59], v121
	ds_read_b64 v[56:57], v193
	ds_read2_b64 v[164:167], v82 offset0:96 offset1:156
	global_load_dwordx4 v[168:171], v65, s[12:13] offset:800
	global_load_dwordx4 v[172:175], v86, s[12:13] offset:816
	;; [unrolled: 1-line block ×3, first 2 shown]
	ds_read2_b64 v[180:183], v116 offset0:72 offset1:132
	ds_read2_b64 v[184:187], v83 offset0:176 offset1:236
	;; [unrolled: 1-line block ×4, first 2 shown]
	global_load_dwordx4 v[199:202], v65, s[12:13] offset:832
	global_load_dwordx4 v[203:206], v65, s[12:13] offset:816
	ds_read2_b64 v[12:15], v105 offset0:112 offset1:172
	ds_read2_b64 v[207:210], v104 offset0:88 offset1:148
	global_load_dwordx4 v[211:214], v65, s[12:13] offset:848
	global_load_dwordx4 v[219:222], v65, s[12:13] offset:864
	ds_read2_b64 v[215:218], v116 offset0:192 offset1:252
	global_load_dwordx4 v[223:226], v86, s[12:13] offset:848
	global_load_dwordx4 v[227:230], v86, s[12:13] offset:832
	s_mov_b32 s8, 0x8889
	s_waitcnt vmcnt(13) lgkmcnt(14)
	v_mul_f64 v[63:64], v[134:135], v[108:109]
	s_waitcnt vmcnt(12)
	v_mul_f64 v[110:111], v[72:73], v[124:125]
	v_mul_f64 v[84:85], v[68:69], v[108:109]
	s_waitcnt lgkmcnt(13)
	v_mul_f64 v[101:102], v[138:139], v[124:125]
	s_waitcnt vmcnt(11) lgkmcnt(12)
	v_mul_f64 v[112:113], v[142:143], v[128:129]
	v_mul_f64 v[114:115], v[76:77], v[128:129]
	s_waitcnt vmcnt(10)
	v_mul_f64 v[245:246], v[88:89], v[132:133]
	s_waitcnt lgkmcnt(11)
	v_mul_f64 v[251:252], v[148:149], v[132:133]
	v_fma_f64 v[118:119], v[68:69], v[106:107], v[63:64]
	v_fma_f64 v[138:139], v[138:139], v[122:123], -v[110:111]
	v_mul_f64 v[64:65], v[136:137], v[108:109]
	v_mul_f64 v[68:69], v[70:71], v[108:109]
	global_load_dwordx4 v[108:111], v86, s[12:13] offset:864
	v_mul_u32_u24_sdwa v63, v67, s8 dst_sel:DWORD dst_unused:UNUSED_PAD src0_sel:WORD_0 src1_sel:DWORD
	v_lshrrev_b32_e32 v63, 21, v63
	v_mul_lo_u16_e32 v63, 60, v63
	v_sub_u16_e32 v63, v67, v63
	v_mul_u32_u24_e32 v67, 5, v63
	v_lshlrev_b32_e32 v86, 4, v67
	v_fma_f64 v[101:102], v[72:73], v[122:123], v[101:102]
	v_fma_f64 v[112:113], v[76:77], v[126:127], v[112:113]
	v_mul_f64 v[72:73], v[140:141], v[124:125]
	v_mul_f64 v[76:77], v[74:75], v[124:125]
	global_load_dwordx4 v[231:234], v86, s[12:13] offset:800
	global_load_dwordx4 v[235:238], v86, s[12:13] offset:832
	;; [unrolled: 1-line block ×3, first 2 shown]
	v_fma_f64 v[84:85], v[134:135], v[106:107], -v[84:85]
	v_fma_f64 v[158:159], v[70:71], v[106:107], v[64:65]
	v_fma_f64 v[106:107], v[136:137], v[106:107], -v[68:69]
	v_mul_u32_u24_sdwa v64, v255, s8 dst_sel:DWORD dst_unused:UNUSED_PAD src0_sel:WORD_0 src1_sel:DWORD
	v_fma_f64 v[243:244], v[74:75], v[122:123], v[72:73]
	v_fma_f64 v[140:141], v[140:141], v[122:123], -v[76:77]
	v_mul_f64 v[75:76], v[144:145], v[128:129]
	v_mul_f64 v[128:129], v[78:79], v[128:129]
	global_load_dwordx4 v[67:70], v86, s[12:13] offset:848
	global_load_dwordx4 v[71:74], v86, s[12:13] offset:864
	v_lshrrev_b32_e32 v64, 21, v64
	v_mul_lo_u16_e32 v64, 60, v64
	v_sub_u16_e32 v64, v255, v64
	v_mul_u32_u24_e32 v65, 5, v64
	v_lshlrev_b32_e32 v65, 4, v65
	v_fma_f64 v[114:115], v[142:143], v[126:127], -v[114:115]
	v_mul_f64 v[142:143], v[146:147], v[132:133]
	global_load_dwordx4 v[122:125], v65, s[12:13] offset:816
	global_load_dwordx4 v[134:137], v65, s[12:13] offset:800
	v_fma_f64 v[249:250], v[78:79], v[126:127], v[75:76]
	v_fma_f64 v[144:145], v[144:145], v[126:127], -v[128:129]
	global_load_dwordx4 v[75:78], v65, s[12:13] offset:848
	global_load_dwordx4 v[126:129], v65, s[12:13] offset:832
	v_mul_f64 v[132:133], v[90:91], v[132:133]
	v_fma_f64 v[146:147], v[146:147], v[130:131], -v[245:246]
	v_fma_f64 v[245:246], v[90:91], v[130:131], v[251:252]
	v_fma_f64 v[142:143], v[88:89], v[130:131], v[142:143]
	global_load_dwordx4 v[87:90], v65, s[12:13] offset:864
	s_waitcnt vmcnt(20) lgkmcnt(10)
	v_mul_f64 v[247:248], v[150:151], v[156:157]
	v_mul_f64 v[253:254], v[92:93], v[156:157]
	;; [unrolled: 1-line block ×4, first 2 shown]
	v_fma_f64 v[148:149], v[148:149], v[130:131], -v[132:133]
	ds_read2_b64 v[130:133], v117 offset0:144 offset1:204
	v_fma_f64 v[247:248], v[92:93], v[154:155], v[247:248]
	v_fma_f64 v[150:151], v[150:151], v[154:155], -v[253:254]
	s_waitcnt vmcnt(19) lgkmcnt(8)
	v_mul_f64 v[253:254], v[164:165], v[170:171]
	v_mul_f64 v[170:171], v[96:97], v[170:171]
	v_fma_f64 v[251:252], v[94:95], v[154:155], v[251:252]
	v_fma_f64 v[152:153], v[152:153], v[154:155], -v[156:157]
	s_waitcnt vmcnt(17)
	v_mul_f64 v[154:155], v[166:167], v[178:179]
	v_mul_f64 v[156:157], v[98:99], v[178:179]
	ds_read2_b64 v[91:94], v81 offset0:40 offset1:100
	v_fma_f64 v[178:179], v[96:97], v[168:169], v[253:254]
	v_fma_f64 v[164:165], v[164:165], v[168:169], -v[170:171]
	s_waitcnt vmcnt(15) lgkmcnt(8)
	v_mul_f64 v[168:169], v[180:181], v[205:206]
	v_mul_f64 v[170:171], v[48:49], v[205:206]
	v_fma_f64 v[154:155], v[98:99], v[176:177], v[154:155]
	v_fma_f64 v[156:157], v[166:167], v[176:177], -v[156:157]
	s_waitcnt vmcnt(14) lgkmcnt(6)
	v_mul_f64 v[176:177], v[188:189], v[213:214]
	v_mul_f64 v[166:167], v[44:45], v[201:202]
	;; [unrolled: 1-line block ×3, first 2 shown]
	ds_read2_b64 v[95:98], v66 offset0:120 offset1:180
	v_fma_f64 v[48:49], v[48:49], v[203:204], v[168:169]
	v_fma_f64 v[168:169], v[180:181], v[203:204], -v[170:171]
	v_mul_f64 v[170:171], v[40:41], v[213:214]
	s_waitcnt vmcnt(13) lgkmcnt(6)
	v_mul_f64 v[180:181], v[195:196], v[221:222]
	v_fma_f64 v[40:41], v[40:41], v[211:212], v[176:177]
	v_mul_f64 v[176:177], v[182:183], v[174:175]
	v_fma_f64 v[166:167], v[184:185], v[199:200], -v[166:167]
	v_mul_f64 v[174:175], v[50:51], v[174:175]
	s_waitcnt vmcnt(11)
	v_mul_f64 v[184:185], v[186:187], v[229:230]
	v_mul_f64 v[201:202], v[36:37], v[221:222]
	v_fma_f64 v[170:171], v[188:189], v[211:212], -v[170:171]
	v_mul_f64 v[188:189], v[46:47], v[229:230]
	v_fma_f64 v[36:37], v[36:37], v[219:220], v[180:181]
	v_fma_f64 v[50:51], v[50:51], v[172:173], v[176:177]
	s_waitcnt vmcnt(10)
	v_mul_f64 v[176:177], v[197:198], v[110:111]
	v_fma_f64 v[172:173], v[182:183], v[172:173], -v[174:175]
	v_fma_f64 v[46:47], v[46:47], v[227:228], v[184:185]
	v_mul_f64 v[110:111], v[38:39], v[110:111]
	v_fma_f64 v[180:181], v[195:196], v[219:220], -v[201:202]
	v_fma_f64 v[182:183], v[186:187], v[227:228], -v[188:189]
	v_fma_f64 v[44:45], v[44:45], v[199:200], v[205:206]
	v_mul_f64 v[195:196], v[190:191], v[225:226]
	v_fma_f64 v[38:39], v[38:39], v[108:109], v[176:177]
	v_mul_f64 v[174:175], v[42:43], v[225:226]
	s_waitcnt vmcnt(9) lgkmcnt(0)
	v_mul_f64 v[184:185], v[207:208], v[233:234]
	v_mul_f64 v[186:187], v[32:33], v[233:234]
	s_waitcnt vmcnt(7)
	v_mul_f64 v[188:189], v[215:216], v[241:242]
	v_mul_f64 v[176:177], v[91:92], v[237:238]
	v_fma_f64 v[108:109], v[197:198], v[108:109], -v[110:111]
	v_mul_f64 v[110:111], v[28:29], v[241:242]
	v_fma_f64 v[42:43], v[42:43], v[223:224], v[195:196]
	v_fma_f64 v[174:175], v[190:191], v[223:224], -v[174:175]
	v_fma_f64 v[32:33], v[32:33], v[231:232], v[184:185]
	v_fma_f64 v[184:185], v[207:208], v[231:232], -v[186:187]
	v_mul_f64 v[186:187], v[24:25], v[237:238]
	v_fma_f64 v[28:29], v[28:29], v[239:240], v[188:189]
	s_waitcnt vmcnt(6)
	v_mul_f64 v[188:189], v[130:131], v[69:70]
	v_mul_f64 v[69:70], v[20:21], v[69:70]
	v_fma_f64 v[24:25], v[24:25], v[235:236], v[176:177]
	s_waitcnt vmcnt(5)
	v_mul_f64 v[176:177], v[95:96], v[73:74]
	v_mul_f64 v[73:74], v[16:17], v[73:74]
	v_fma_f64 v[110:111], v[215:216], v[239:240], -v[110:111]
	v_fma_f64 v[91:92], v[91:92], v[235:236], -v[186:187]
	s_waitcnt vmcnt(3)
	v_mul_f64 v[186:187], v[209:210], v[136:137]
	v_fma_f64 v[20:21], v[20:21], v[67:68], v[188:189]
	v_fma_f64 v[67:68], v[130:131], v[67:68], -v[69:70]
	v_mul_f64 v[130:131], v[217:218], v[124:125]
	v_fma_f64 v[16:17], v[16:17], v[71:72], v[176:177]
	v_fma_f64 v[71:72], v[95:96], v[71:72], -v[73:74]
	v_mul_f64 v[73:74], v[30:31], v[124:125]
	s_waitcnt vmcnt(1)
	v_mul_f64 v[95:96], v[93:94], v[128:129]
	v_mul_f64 v[124:125], v[26:27], v[128:129]
	;; [unrolled: 1-line block ×4, first 2 shown]
	v_fma_f64 v[30:31], v[30:31], v[122:123], v[130:131]
	v_mul_f64 v[69:70], v[34:35], v[136:137]
	v_fma_f64 v[34:35], v[34:35], v[134:135], v[186:187]
	v_fma_f64 v[73:74], v[217:218], v[122:123], -v[73:74]
	v_add_f64 v[122:123], v[101:102], v[142:143]
	v_fma_f64 v[26:27], v[26:27], v[126:127], v[95:96]
	v_fma_f64 v[93:94], v[93:94], v[126:127], -v[124:125]
	s_waitcnt vmcnt(0)
	v_mul_f64 v[95:96], v[97:98], v[89:90]
	v_add_f64 v[124:125], v[114:115], v[150:151]
	v_fma_f64 v[22:23], v[22:23], v[75:76], v[128:129]
	v_fma_f64 v[75:76], v[132:133], v[75:76], -v[77:78]
	v_add_f64 v[77:78], v[4:5], v[101:102]
	v_fma_f64 v[4:5], v[122:123], -0.5, v[4:5]
	v_add_f64 v[122:123], v[138:139], -v[146:147]
	v_add_f64 v[126:127], v[112:113], v[247:248]
	v_fma_f64 v[95:96], v[18:19], v[87:88], v[95:96]
	v_fma_f64 v[124:125], v[124:125], -0.5, v[84:85]
	v_add_f64 v[128:129], v[112:113], -v[247:248]
	v_mul_f64 v[18:19], v[18:19], v[89:90]
	v_add_f64 v[89:90], v[138:139], v[146:147]
	v_add_f64 v[132:133], v[114:115], -v[150:151]
	v_fma_f64 v[130:131], v[122:123], s[0:1], v[4:5]
	v_fma_f64 v[126:127], v[126:127], -0.5, v[118:119]
	v_fma_f64 v[4:5], v[122:123], s[6:7], v[4:5]
	v_add_f64 v[77:78], v[77:78], v[142:143]
	v_fma_f64 v[122:123], v[128:129], s[6:7], v[124:125]
	v_fma_f64 v[124:125], v[128:129], s[0:1], v[124:125]
	v_add_f64 v[128:129], v[8:9], v[138:139]
	v_fma_f64 v[8:9], v[89:90], -0.5, v[8:9]
	v_add_f64 v[89:90], v[101:102], -v[142:143]
	v_add_f64 v[101:102], v[118:119], v[112:113]
	v_fma_f64 v[112:113], v[132:133], s[0:1], v[126:127]
	v_fma_f64 v[118:119], v[132:133], s[6:7], v[126:127]
	v_mul_f64 v[126:127], v[122:123], s[0:1]
	v_mul_f64 v[132:133], v[124:125], s[0:1]
	v_add_f64 v[84:85], v[84:85], v[114:115]
	v_mul_f64 v[122:123], v[122:123], 0.5
	v_mul_f64 v[124:125], v[124:125], -0.5
	v_add_f64 v[101:102], v[101:102], v[247:248]
	v_add_f64 v[114:115], v[128:129], v[146:147]
	v_fma_f64 v[128:129], v[89:90], s[6:7], v[8:9]
	v_fma_f64 v[126:127], v[112:113], 0.5, v[126:127]
	v_fma_f64 v[132:133], v[118:119], -0.5, v[132:133]
	v_add_f64 v[84:85], v[84:85], v[150:151]
	v_fma_f64 v[8:9], v[89:90], s[0:1], v[8:9]
	v_fma_f64 v[89:90], v[112:113], s[6:7], v[122:123]
	;; [unrolled: 1-line block ×3, first 2 shown]
	v_fma_f64 v[18:19], v[97:98], v[87:88], -v[18:19]
	v_add_f64 v[87:88], v[77:78], v[101:102]
	v_add_f64 v[124:125], v[243:244], v[245:246]
	v_add_f64 v[77:78], v[77:78], -v[101:102]
	v_add_f64 v[101:102], v[144:145], v[152:153]
	v_add_f64 v[97:98], v[130:131], v[126:127]
	;; [unrolled: 1-line block ×4, first 2 shown]
	v_add_f64 v[126:127], v[130:131], -v[126:127]
	v_add_f64 v[4:5], v[4:5], -v[132:133]
	v_add_f64 v[130:131], v[54:55], v[243:244]
	v_fma_f64 v[54:55], v[124:125], -0.5, v[54:55]
	v_add_f64 v[124:125], v[140:141], -v[148:149]
	v_add_f64 v[132:133], v[249:250], v[251:252]
	v_add_f64 v[138:139], v[114:115], -v[84:85]
	v_fma_f64 v[84:85], v[101:102], -0.5, v[106:107]
	v_add_f64 v[101:102], v[249:250], -v[251:252]
	v_fma_f64 v[69:70], v[209:210], v[134:135], -v[69:70]
	v_add_f64 v[134:135], v[128:129], v[89:90]
	v_add_f64 v[128:129], v[128:129], -v[89:90]
	v_add_f64 v[89:90], v[130:131], v[245:246]
	v_add_f64 v[114:115], v[140:141], v[148:149]
	v_fma_f64 v[130:131], v[124:125], s[0:1], v[54:55]
	v_fma_f64 v[132:133], v[132:133], -0.5, v[158:159]
	v_add_f64 v[142:143], v[144:145], -v[152:153]
	v_fma_f64 v[54:55], v[124:125], s[6:7], v[54:55]
	v_fma_f64 v[124:125], v[101:102], s[6:7], v[84:85]
	;; [unrolled: 1-line block ×3, first 2 shown]
	v_add_f64 v[101:102], v[58:59], v[140:141]
	v_add_f64 v[140:141], v[158:159], v[249:250]
	;; [unrolled: 1-line block ×4, first 2 shown]
	v_fma_f64 v[146:147], v[142:143], s[0:1], v[132:133]
	v_fma_f64 v[132:133], v[142:143], s[6:7], v[132:133]
	v_mul_f64 v[142:143], v[124:125], s[0:1]
	v_mul_f64 v[150:151], v[84:85], s[0:1]
	v_fma_f64 v[58:59], v[114:115], -0.5, v[58:59]
	v_add_f64 v[140:141], v[140:141], v[251:252]
	v_add_f64 v[114:115], v[243:244], -v[245:246]
	v_add_f64 v[101:102], v[101:102], v[148:149]
	v_mul_f64 v[124:125], v[124:125], 0.5
	v_mul_f64 v[84:85], v[84:85], -0.5
	v_fma_f64 v[142:143], v[146:147], 0.5, v[142:143]
	v_fma_f64 v[148:149], v[132:133], -0.5, v[150:151]
	v_add_f64 v[106:107], v[106:107], v[152:153]
	v_add_f64 v[112:113], v[8:9], -v[112:113]
	v_add_f64 v[8:9], v[89:90], v[140:141]
	v_add_f64 v[150:151], v[48:49], v[40:41]
	v_add_f64 v[89:90], v[89:90], -v[140:141]
	v_add_f64 v[140:141], v[166:167], v[180:181]
	v_fma_f64 v[144:145], v[114:115], s[6:7], v[58:59]
	v_fma_f64 v[58:59], v[114:115], s[0:1], v[58:59]
	;; [unrolled: 1-line block ×4, first 2 shown]
	v_add_f64 v[124:125], v[130:131], v[142:143]
	v_add_f64 v[132:133], v[54:55], v[148:149]
	;; [unrolled: 1-line block ×3, first 2 shown]
	v_add_f64 v[130:131], v[130:131], -v[142:143]
	v_add_f64 v[54:55], v[54:55], -v[148:149]
	v_add_f64 v[142:143], v[52:53], v[48:49]
	v_fma_f64 v[52:53], v[150:151], -0.5, v[52:53]
	v_add_f64 v[148:149], v[168:169], -v[170:171]
	v_add_f64 v[150:151], v[44:45], v[36:37]
	v_add_f64 v[106:107], v[101:102], -v[106:107]
	v_fma_f64 v[101:102], v[140:141], -0.5, v[164:165]
	v_add_f64 v[140:141], v[44:45], -v[36:37]
	v_add_f64 v[152:153], v[144:145], v[114:115]
	v_add_f64 v[144:145], v[144:145], -v[114:115]
	v_add_f64 v[114:115], v[142:143], v[40:41]
	v_add_f64 v[142:143], v[168:169], v[170:171]
	v_fma_f64 v[176:177], v[148:149], s[0:1], v[52:53]
	v_fma_f64 v[150:151], v[150:151], -0.5, v[178:179]
	v_add_f64 v[186:187], v[166:167], -v[180:181]
	v_fma_f64 v[52:53], v[148:149], s[6:7], v[52:53]
	v_fma_f64 v[148:149], v[140:141], s[6:7], v[101:102]
	;; [unrolled: 1-line block ×3, first 2 shown]
	v_add_f64 v[44:45], v[178:179], v[44:45]
	v_add_f64 v[140:141], v[56:57], v[168:169]
	v_fma_f64 v[56:57], v[142:143], -0.5, v[56:57]
	v_add_f64 v[40:41], v[48:49], -v[40:41]
	v_fma_f64 v[48:49], v[186:187], s[0:1], v[150:151]
	v_fma_f64 v[142:143], v[186:187], s[6:7], v[150:151]
	v_mul_f64 v[150:151], v[148:149], s[0:1]
	v_mul_f64 v[168:169], v[101:102], s[0:1]
	v_add_f64 v[164:165], v[164:165], v[166:167]
	v_mul_f64 v[101:102], v[101:102], -0.5
	v_add_f64 v[36:37], v[44:45], v[36:37]
	v_add_f64 v[158:159], v[58:59], v[84:85]
	;; [unrolled: 1-line block ×3, first 2 shown]
	v_mul_f64 v[148:149], v[148:149], 0.5
	v_fma_f64 v[166:167], v[40:41], s[6:7], v[56:57]
	v_fma_f64 v[44:45], v[48:49], 0.5, v[150:151]
	v_fma_f64 v[150:151], v[142:143], -0.5, v[168:169]
	v_add_f64 v[164:165], v[164:165], v[180:181]
	v_fma_f64 v[40:41], v[40:41], s[0:1], v[56:57]
	v_fma_f64 v[56:57], v[142:143], s[6:7], v[101:102]
	v_add_f64 v[142:143], v[58:59], -v[84:85]
	v_add_f64 v[58:59], v[114:115], v[36:37]
	v_add_f64 v[168:169], v[50:51], v[42:43]
	v_add_f64 v[36:37], v[114:115], -v[36:37]
	v_add_f64 v[114:115], v[182:183], v[108:109]
	v_fma_f64 v[48:49], v[48:49], s[6:7], v[148:149]
	v_add_f64 v[84:85], v[176:177], v[44:45]
	v_add_f64 v[101:102], v[52:53], v[150:151]
	;; [unrolled: 1-line block ×3, first 2 shown]
	v_add_f64 v[44:45], v[176:177], -v[44:45]
	v_add_f64 v[52:53], v[52:53], -v[150:151]
	v_add_f64 v[150:151], v[6:7], v[50:51]
	v_fma_f64 v[6:7], v[168:169], -0.5, v[6:7]
	v_add_f64 v[168:169], v[172:173], -v[174:175]
	v_add_f64 v[176:177], v[46:47], v[38:39]
	v_add_f64 v[140:141], v[140:141], -v[164:165]
	v_fma_f64 v[114:115], v[114:115], -0.5, v[156:157]
	v_add_f64 v[164:165], v[46:47], -v[38:39]
	v_add_f64 v[170:171], v[166:167], v[48:49]
	v_add_f64 v[166:167], v[166:167], -v[48:49]
	v_add_f64 v[48:49], v[150:151], v[42:43]
	v_add_f64 v[150:151], v[172:173], v[174:175]
	v_fma_f64 v[180:181], v[168:169], s[0:1], v[6:7]
	v_fma_f64 v[176:177], v[176:177], -0.5, v[154:155]
	v_add_f64 v[186:187], v[182:183], -v[108:109]
	v_fma_f64 v[6:7], v[168:169], s[6:7], v[6:7]
	v_fma_f64 v[168:169], v[164:165], s[6:7], v[114:115]
	;; [unrolled: 1-line block ×3, first 2 shown]
	v_add_f64 v[46:47], v[154:155], v[46:47]
	v_add_f64 v[164:165], v[10:11], v[172:173]
	v_fma_f64 v[10:11], v[150:151], -0.5, v[10:11]
	v_add_f64 v[42:43], v[50:51], -v[42:43]
	v_fma_f64 v[50:51], v[186:187], s[0:1], v[176:177]
	v_fma_f64 v[150:151], v[186:187], s[6:7], v[176:177]
	v_mul_f64 v[154:155], v[168:169], s[0:1]
	v_mul_f64 v[172:173], v[114:115], s[0:1]
	v_add_f64 v[156:157], v[156:157], v[182:183]
	v_mul_f64 v[168:169], v[168:169], 0.5
	v_mul_f64 v[114:115], v[114:115], -0.5
	v_add_f64 v[38:39], v[46:47], v[38:39]
	v_add_f64 v[178:179], v[40:41], v[56:57]
	;; [unrolled: 1-line block ×3, first 2 shown]
	v_fma_f64 v[174:175], v[42:43], s[6:7], v[10:11]
	v_fma_f64 v[46:47], v[50:51], 0.5, v[154:155]
	v_fma_f64 v[154:155], v[150:151], -0.5, v[172:173]
	v_add_f64 v[108:109], v[156:157], v[108:109]
	v_fma_f64 v[10:11], v[42:43], s[0:1], v[10:11]
	v_fma_f64 v[42:43], v[50:51], s[6:7], v[168:169]
	v_fma_f64 v[50:51], v[150:151], s[6:7], v[114:115]
	v_add_f64 v[150:151], v[40:41], -v[56:57]
	v_add_f64 v[40:41], v[48:49], v[38:39]
	v_add_f64 v[168:169], v[28:29], v[20:21]
	v_add_f64 v[38:39], v[48:49], -v[38:39]
	v_add_f64 v[48:49], v[91:92], v[71:72]
	v_add_f64 v[56:57], v[180:181], v[46:47]
	;; [unrolled: 1-line block ×4, first 2 shown]
	v_add_f64 v[46:47], v[180:181], -v[46:47]
	v_add_f64 v[6:7], v[6:7], -v[154:155]
	v_add_f64 v[154:155], v[0:1], v[28:29]
	v_fma_f64 v[0:1], v[168:169], -0.5, v[0:1]
	v_add_f64 v[168:169], v[110:111], -v[67:68]
	v_add_f64 v[180:181], v[24:25], v[16:17]
	v_add_f64 v[164:165], v[164:165], -v[108:109]
	v_fma_f64 v[48:49], v[48:49], -0.5, v[184:185]
	v_add_f64 v[108:109], v[24:25], -v[16:17]
	v_add_f64 v[172:173], v[174:175], v[42:43]
	v_add_f64 v[174:175], v[174:175], -v[42:43]
	v_add_f64 v[42:43], v[154:155], v[20:21]
	v_add_f64 v[154:155], v[110:111], v[67:68]
	v_fma_f64 v[182:183], v[168:169], s[0:1], v[0:1]
	v_fma_f64 v[180:181], v[180:181], -0.5, v[32:33]
	v_add_f64 v[186:187], v[91:92], -v[71:72]
	v_fma_f64 v[0:1], v[168:169], s[6:7], v[0:1]
	v_fma_f64 v[168:169], v[108:109], s[6:7], v[48:49]
	;; [unrolled: 1-line block ×3, first 2 shown]
	v_add_f64 v[24:25], v[32:33], v[24:25]
	v_add_f64 v[108:109], v[12:13], v[110:111]
	v_fma_f64 v[12:13], v[154:155], -0.5, v[12:13]
	v_add_f64 v[20:21], v[28:29], -v[20:21]
	v_fma_f64 v[28:29], v[186:187], s[0:1], v[180:181]
	v_fma_f64 v[32:33], v[186:187], s[6:7], v[180:181]
	v_mul_f64 v[110:111], v[168:169], s[0:1]
	v_mul_f64 v[154:155], v[48:49], s[0:1]
	v_add_f64 v[91:92], v[184:185], v[91:92]
	v_add_f64 v[16:17], v[24:25], v[16:17]
	;; [unrolled: 1-line block ×4, first 2 shown]
	v_mul_f64 v[108:109], v[168:169], 0.5
	v_mul_f64 v[48:49], v[48:49], -0.5
	v_fma_f64 v[24:25], v[28:29], 0.5, v[110:111]
	v_fma_f64 v[110:111], v[32:33], -0.5, v[154:155]
	v_add_f64 v[71:72], v[91:92], v[71:72]
	v_add_f64 v[154:155], v[10:11], -v[50:51]
	v_add_f64 v[10:11], v[42:43], v[16:17]
	v_add_f64 v[50:51], v[30:31], v[22:23]
	v_add_f64 v[16:17], v[42:43], -v[16:17]
	v_add_f64 v[42:43], v[93:94], v[18:19]
	v_fma_f64 v[168:169], v[20:21], s[6:7], v[12:13]
	v_fma_f64 v[12:13], v[20:21], s[0:1], v[12:13]
	;; [unrolled: 1-line block ×3, first 2 shown]
	v_add_f64 v[180:181], v[67:68], v[71:72]
	v_add_f64 v[91:92], v[2:3], v[30:31]
	v_fma_f64 v[2:3], v[50:51], -0.5, v[2:3]
	v_add_f64 v[50:51], v[73:74], -v[75:76]
	v_add_f64 v[108:109], v[26:27], v[95:96]
	v_add_f64 v[67:68], v[67:68], -v[71:72]
	v_fma_f64 v[42:43], v[42:43], -0.5, v[69:70]
	v_add_f64 v[71:72], v[26:27], -v[95:96]
	v_fma_f64 v[28:29], v[32:33], s[6:7], v[48:49]
	v_add_f64 v[32:33], v[182:183], v[24:25]
	v_add_f64 v[48:49], v[0:1], v[110:111]
	v_add_f64 v[24:25], v[182:183], -v[24:25]
	v_add_f64 v[0:1], v[0:1], -v[110:111]
	v_add_f64 v[110:111], v[14:15], v[73:74]
	v_add_f64 v[73:74], v[73:74], v[75:76]
	v_fma_f64 v[182:183], v[50:51], s[0:1], v[2:3]
	v_fma_f64 v[108:109], v[108:109], -0.5, v[34:35]
	v_add_f64 v[188:189], v[93:94], -v[18:19]
	v_fma_f64 v[2:3], v[50:51], s[6:7], v[2:3]
	v_fma_f64 v[50:51], v[71:72], s[6:7], v[42:43]
	;; [unrolled: 1-line block ×3, first 2 shown]
	v_add_f64 v[91:92], v[91:92], v[22:23]
	v_fma_f64 v[14:15], v[73:74], -0.5, v[14:15]
	v_add_f64 v[22:23], v[30:31], -v[22:23]
	v_add_f64 v[26:27], v[34:35], v[26:27]
	v_fma_f64 v[30:31], v[188:189], s[0:1], v[108:109]
	v_add_f64 v[71:72], v[110:111], v[75:76]
	v_mul_f64 v[73:74], v[50:51], s[0:1]
	v_fma_f64 v[34:35], v[188:189], s[6:7], v[108:109]
	v_mul_f64 v[75:76], v[42:43], s[0:1]
	v_add_f64 v[69:70], v[69:70], v[93:94]
	v_mul_f64 v[42:43], v[42:43], -0.5
	v_fma_f64 v[93:94], v[22:23], s[6:7], v[14:15]
	v_fma_f64 v[14:15], v[22:23], s[0:1], v[14:15]
	v_add_f64 v[22:23], v[26:27], v[95:96]
	v_fma_f64 v[26:27], v[30:31], 0.5, v[73:74]
	v_mul_f64 v[50:51], v[50:51], 0.5
	v_fma_f64 v[73:74], v[34:35], -0.5, v[75:76]
	v_add_f64 v[186:187], v[12:13], v[28:29]
	v_fma_f64 v[34:35], v[34:35], s[6:7], v[42:43]
	v_add_f64 v[28:29], v[12:13], -v[28:29]
	v_add_f64 v[18:19], v[69:70], v[18:19]
	v_add_f64 v[12:13], v[91:92], v[22:23]
	;; [unrolled: 1-line block ×3, first 2 shown]
	v_fma_f64 v[30:31], v[30:31], s[6:7], v[50:51]
	v_add_f64 v[50:51], v[2:3], v[73:74]
	v_add_f64 v[22:23], v[91:92], -v[22:23]
	v_add_f64 v[26:27], v[182:183], -v[26:27]
	;; [unrolled: 1-line block ×3, first 2 shown]
	; wave barrier
	ds_write2_b64 v120, v[87:88], v[97:98] offset1:60
	ds_write2_b64 v120, v[118:119], v[77:78] offset0:120 offset1:180
	ds_write2_b64 v105, v[126:127], v[4:5] offset0:112 offset1:172
	;; [unrolled: 1-line block ×5, first 2 shown]
	v_lshl_add_u32 v4, v61, 3, 0
	v_add_u32_e32 v61, 0x1400, v4
	v_add_u32_e32 v65, 0x1800, v4
	v_lshl_add_u32 v4, v62, 3, 0
	v_add_u32_e32 v62, 0x2000, v4
	v_add_u32_e32 v77, 0x2800, v4
	;; [unrolled: 3-line block ×3, first 2 shown]
	ds_write2_b64 v61, v[58:59], v[84:85] offset0:80 offset1:140
	ds_write2_b64 v65, v[101:102], v[36:37] offset0:72 offset1:132
	;; [unrolled: 1-line block ×9, first 2 shown]
	v_lshl_add_u32 v0, v64, 3, 0
	v_add_u32_e32 v24, 0x3800, v0
	ds_write2_b64 v24, v[12:13], v[42:43] offset0:8 offset1:68
	ds_write2_b64 v24, v[50:51], v[22:23] offset0:128 offset1:188
	v_add_u32_e32 v22, 0x3c00, v0
	v_add_f64 v[69:70], v[71:72], v[18:19]
	v_add_f64 v[75:76], v[93:94], v[30:31]
	;; [unrolled: 1-line block ×3, first 2 shown]
	v_add_f64 v[71:72], v[71:72], -v[18:19]
	v_add_f64 v[30:31], v[93:94], -v[30:31]
	;; [unrolled: 1-line block ×3, first 2 shown]
	ds_write2_b64 v22, v[26:27], v[2:3] offset0:120 offset1:180
	s_waitcnt lgkmcnt(0)
	; wave barrier
	s_waitcnt lgkmcnt(0)
	ds_read2_b64 v[36:39], v120 offset1:180
	ds_read2_b64 v[48:51], v80 offset0:104 offset1:164
	ds_read2_b64 v[40:43], v103 offset0:80 offset1:140
	;; [unrolled: 1-line block ×5, first 2 shown]
	ds_read_b64 v[114:115], v121
	ds_read_b64 v[108:109], v193
	ds_read2_b64 v[92:95], v82 offset0:96 offset1:156
	ds_read2_b64 v[84:87], v116 offset0:72 offset1:132
	;; [unrolled: 1-line block ×11, first 2 shown]
	v_mov_b32_e32 v190, v121
	v_add_f64 v[184:185], v[168:169], v[20:21]
	v_add_f64 v[20:21], v[168:169], -v[20:21]
	s_waitcnt lgkmcnt(0)
	; wave barrier
	s_waitcnt lgkmcnt(0)
	ds_write2_b64 v120, v[122:123], v[134:135] offset1:60
	ds_write2_b64 v120, v[136:137], v[138:139] offset0:120 offset1:180
	ds_write2_b64 v105, v[128:129], v[112:113] offset0:112 offset1:172
	;; [unrolled: 1-line block ×17, first 2 shown]
	s_waitcnt lgkmcnt(0)
	; wave barrier
	s_waitcnt lgkmcnt(0)
	s_and_saveexec_b64 s[8:9], vcc
	s_cbranch_execz .LBB0_21
; %bb.20:
	v_mul_u32_u24_e32 v20, 5, v255
	v_lshlrev_b32_e32 v20, 4, v20
	v_mov_b32_e32 v119, s13
	v_add_co_u32_e32 v20, vcc, s12, v20
	v_addc_co_u32_e32 v21, vcc, 0, v119, vcc
	s_movk_i32 s8, 0x15e0
	v_add_co_u32_e32 v71, vcc, s8, v20
	v_addc_co_u32_e32 v72, vcc, 0, v21, vcc
	s_movk_i32 s9, 0x1000
	v_add_co_u32_e32 v73, vcc, s9, v20
	v_addc_co_u32_e32 v74, vcc, 0, v21, vcc
	global_load_dwordx4 v[20:23], v[73:74], off offset:1504
	global_load_dwordx4 v[24:27], v[71:72], off offset:48
	;; [unrolled: 1-line block ×5, first 2 shown]
	v_mov_b32_e32 v65, 0xfffffed4
	v_mov_b32_e32 v111, 0
	v_mad_u32_u24 v110, v255, 5, v65
	v_lshlrev_b64 v[71:72], 4, v[110:111]
	v_add_u32_e32 v159, 0x1800, v120
	v_add_co_u32_e32 v65, vcc, s12, v71
	v_addc_co_u32_e32 v79, vcc, v119, v72, vcc
	v_add_co_u32_e32 v112, vcc, s8, v65
	v_addc_co_u32_e32 v113, vcc, 0, v79, vcc
	global_load_dwordx4 v[71:74], v[112:113], off offset:48
	global_load_dwordx4 v[75:78], v[112:113], off offset:16
	v_add_co_u32_e32 v116, vcc, s9, v65
	v_addc_co_u32_e32 v117, vcc, 0, v79, vcc
	global_load_dwordx4 v[79:82], v[116:117], off offset:1504
	global_load_dwordx4 v[104:107], v[112:113], off offset:32
                                        ; kill: killed $vgpr112 killed $vgpr113
	global_load_dwordx4 v[123:126], v[116:117], off offset:1568
	v_add_u32_e32 v65, 0x400, v120
	v_add_u32_e32 v188, 0x3000, v120
	v_add_u32_e32 v110, 0x1000, v120
	v_add_u32_e32 v118, 0x2800, v120
	v_add_u32_e32 v113, 0x3c00, v120
	ds_read2_b64 v[127:130], v65 offset0:112 offset1:172
	ds_read2_b64 v[131:134], v159 offset0:192 offset1:252
	;; [unrolled: 1-line block ×6, first 2 shown]
	v_mul_lo_u32 v83, s5, v162
	v_mul_lo_u32 v112, s4, v163
	v_mad_u64_u32 v[116:117], s[4:5], s4, v162, 0
	v_mov_b32_e32 v151, 0xfffffda8
	v_mad_u32_u24 v110, v255, 5, v151
	v_add_co_u32_e32 v121, vcc, s12, v60
	v_lshlrev_b64 v[65:66], 4, v[110:111]
	v_addc_co_u32_e32 v122, vcc, 0, v119, vcc
	v_add3_u32 v117, v117, v112, v83
	v_add_co_u32_e32 v83, vcc, s12, v65
	v_addc_co_u32_e32 v110, vcc, v119, v66, vcc
	v_add_u32_e32 v205, 0x3800, v120
	s_waitcnt vmcnt(9) lgkmcnt(2)
	v_mul_f64 v[151:152], v[22:23], v[141:142]
	s_waitcnt vmcnt(8)
	v_mul_f64 v[112:113], v[10:11], v[26:27]
	s_waitcnt vmcnt(7) lgkmcnt(1)
	v_mul_f64 v[153:154], v[30:31], v[145:146]
	v_mul_f64 v[30:31], v[14:15], v[30:31]
	s_waitcnt vmcnt(5) lgkmcnt(0)
	v_mul_f64 v[155:156], v[69:70], v[149:150]
	v_mul_f64 v[69:70], v[18:19], v[69:70]
	;; [unrolled: 1-line block ×6, first 2 shown]
	v_fma_f64 v[112:113], v[24:25], v[137:138], -v[112:113]
	v_fma_f64 v[30:31], v[28:29], v[145:146], -v[30:31]
	v_fma_f64 v[14:15], v[14:15], v[28:29], v[153:154]
	v_fma_f64 v[69:70], v[67:68], v[149:150], -v[69:70]
	v_fma_f64 v[65:66], v[61:62], v[133:134], -v[65:66]
	v_fma_f64 v[10:11], v[10:11], v[24:25], v[26:27]
	v_fma_f64 v[18:19], v[18:19], v[67:68], v[155:156]
	v_fma_f64 v[22:23], v[20:21], v[141:142], -v[22:23]
	s_waitcnt vmcnt(3)
	v_mul_f64 v[157:158], v[4:5], v[77:78]
	v_mul_f64 v[162:163], v[8:9], v[73:74]
	v_fma_f64 v[6:7], v[6:7], v[61:62], v[63:64]
	v_add_f64 v[24:25], v[30:31], v[69:70]
	v_fma_f64 v[2:3], v[2:3], v[20:21], v[151:152]
	v_add_f64 v[28:29], v[65:66], v[112:113]
	v_add_f64 v[62:63], v[14:15], v[18:19]
	v_add_f64 v[67:68], v[14:15], -v[18:19]
	v_mul_f64 v[77:78], v[131:132], v[77:78]
	v_mul_f64 v[73:74], v[135:136], v[73:74]
	v_fma_f64 v[20:21], v[75:76], v[131:132], -v[157:158]
	v_fma_f64 v[24:25], v[24:25], -0.5, v[22:23]
	v_fma_f64 v[26:27], v[71:72], v[135:136], -v[162:163]
	v_add_f64 v[60:61], v[6:7], -v[10:11]
	v_add_f64 v[131:132], v[30:31], -v[69:70]
	v_fma_f64 v[62:63], v[62:63], -0.5, v[2:3]
	v_add_f64 v[2:3], v[2:3], v[14:15]
	v_fma_f64 v[14:15], v[28:29], -0.5, v[129:130]
	v_add_f64 v[133:134], v[129:130], v[65:66]
	v_fma_f64 v[135:136], v[67:68], s[0:1], v[24:25]
	v_fma_f64 v[24:25], v[67:68], s[6:7], v[24:25]
	v_add_f64 v[22:23], v[22:23], v[30:31]
	v_add_f64 v[30:31], v[6:7], v[10:11]
	;; [unrolled: 1-line block ×3, first 2 shown]
	v_add_f64 v[64:65], v[65:66], -v[112:113]
	v_fma_f64 v[66:67], v[131:132], s[6:7], v[62:63]
	v_fma_f64 v[62:63], v[131:132], s[0:1], v[62:63]
	;; [unrolled: 1-line block ×4, first 2 shown]
	v_mul_f64 v[14:15], v[24:25], s[0:1]
	v_add_f64 v[28:29], v[133:134], v[112:113]
	v_add_f64 v[22:23], v[22:23], v[69:70]
	v_mul_f64 v[68:69], v[135:136], -0.5
	v_mul_f64 v[112:113], v[24:25], 0.5
	v_fma_f64 v[30:31], v[30:31], -0.5, v[34:35]
	v_add_f64 v[34:35], v[6:7], v[10:11]
	v_mul_f64 v[6:7], v[135:136], s[0:1]
	v_fma_f64 v[141:142], v[62:63], 0.5, v[14:15]
	v_add_co_u32_e32 v14, vcc, s8, v83
	v_addc_co_u32_e32 v15, vcc, 0, v110, vcc
	v_add_f64 v[133:134], v[2:3], v[18:19]
	v_add_co_u32_e32 v18, vcc, s9, v83
	s_waitcnt vmcnt(1)
	v_mul_f64 v[166:167], v[106:107], v[143:144]
	s_waitcnt vmcnt(0)
	v_mul_f64 v[168:169], v[125:126], v[147:148]
	v_mul_f64 v[106:107], v[12:13], v[106:107]
	;; [unrolled: 1-line block ×3, first 2 shown]
	v_addc_co_u32_e32 v19, vcc, 0, v110, vcc
	v_fma_f64 v[24:25], v[66:67], s[6:7], v[68:69]
	v_fma_f64 v[112:113], v[62:63], s[6:7], v[112:113]
	;; [unrolled: 1-line block ×4, first 2 shown]
	v_fma_f64 v[137:138], v[66:67], -0.5, v[6:7]
	global_load_dwordx4 v[60:63], v[14:15], off offset:32
	global_load_dwordx4 v[64:67], v[18:19], off offset:1568
	v_mul_f64 v[164:165], v[81:82], v[139:140]
	v_fma_f64 v[145:146], v[12:13], v[104:105], v[166:167]
	v_fma_f64 v[166:167], v[16:17], v[123:124], v[168:169]
	v_fma_f64 v[12:13], v[104:105], v[143:144], -v[106:107]
	v_mul_f64 v[16:17], v[0:1], v[81:82]
	v_fma_f64 v[81:82], v[123:124], v[147:148], -v[125:126]
	v_fma_f64 v[168:169], v[8:9], v[71:72], v[73:74]
	global_load_dwordx4 v[68:71], v[18:19], off offset:1504
	v_fma_f64 v[123:124], v[4:5], v[75:76], v[77:78]
	v_fma_f64 v[125:126], v[0:1], v[79:80], v[164:165]
	v_add_f64 v[18:19], v[145:146], v[166:167]
	v_add_f64 v[10:11], v[28:29], -v[22:23]
	v_fma_f64 v[16:17], v[79:80], v[139:140], -v[16:17]
	v_add_f64 v[106:107], v[12:13], v[81:82]
	global_load_dwordx4 v[72:75], v[14:15], off offset:16
	global_load_dwordx4 v[76:79], v[14:15], off offset:48
	v_add_f64 v[139:140], v[145:146], -v[166:167]
	v_add_f64 v[149:150], v[12:13], -v[81:82]
	v_add_f64 v[22:23], v[28:29], v[22:23]
	v_fma_f64 v[147:148], v[18:19], -0.5, v[125:126]
	v_add_f64 v[28:29], v[123:124], v[168:169]
	v_add_f64 v[2:3], v[129:130], -v[24:25]
	v_fma_f64 v[106:107], v[106:107], -0.5, v[16:17]
	v_add_f64 v[14:15], v[129:130], v[24:25]
	v_add_f64 v[104:105], v[20:21], v[26:27]
	;; [unrolled: 1-line block ×3, first 2 shown]
	v_add_f64 v[6:7], v[131:132], -v[112:113]
	v_add_f64 v[18:19], v[131:132], v[112:113]
	v_fma_f64 v[16:17], v[28:29], -0.5, v[32:33]
	v_fma_f64 v[131:132], v[149:150], s[0:1], v[147:148]
	v_fma_f64 v[151:152], v[139:140], s[0:1], v[106:107]
	;; [unrolled: 1-line block ×4, first 2 shown]
	v_fma_f64 v[104:105], v[104:105], -0.5, v[127:128]
	v_add_f64 v[143:144], v[123:124], -v[168:169]
	v_mul_i32_i24_e32 v110, 5, v194
	v_add_f64 v[127:128], v[127:128], v[20:21]
	v_add_f64 v[20:21], v[20:21], -v[26:27]
	v_mul_f64 v[129:130], v[151:152], -0.5
	v_mul_f64 v[28:29], v[151:152], s[0:1]
	v_mul_f64 v[139:140], v[24:25], 0.5
	v_mul_f64 v[24:25], v[24:25], s[0:1]
	v_fma_f64 v[112:113], v[143:144], s[0:1], v[104:105]
	v_fma_f64 v[172:173], v[143:144], s[6:7], v[104:105]
	v_add_f64 v[32:33], v[32:33], v[123:124]
	v_add_f64 v[104:105], v[125:126], v[145:146]
	v_fma_f64 v[170:171], v[106:107], s[6:7], v[129:130]
	v_fma_f64 v[178:179], v[106:107], -0.5, v[28:29]
	v_lshlrev_b64 v[106:107], 4, v[110:111]
	v_fma_f64 v[174:175], v[131:132], s[6:7], v[139:140]
	v_add_co_u32_e32 v110, vcc, s12, v106
	v_fma_f64 v[182:183], v[131:132], 0.5, v[24:25]
	v_addc_co_u32_e32 v132, vcc, v119, v107, vcc
	v_add_co_u32_e32 v106, vcc, s8, v110
	v_addc_co_u32_e32 v107, vcc, 0, v132, vcc
	v_add_co_u32_e32 v144, vcc, s9, v110
	v_add_u32_e32 v123, 0x2000, v120
	v_addc_co_u32_e32 v145, vcc, 0, v132, vcc
	v_add_u32_e32 v110, 0xc00, v120
	v_add_f64 v[0:1], v[135:136], -v[137:138]
	v_add_f64 v[4:5], v[30:31], -v[141:142]
	;; [unrolled: 1-line block ×3, first 2 shown]
	v_add_f64 v[176:177], v[127:128], v[26:27]
	v_add_f64 v[80:81], v[12:13], v[81:82]
	v_fma_f64 v[82:83], v[20:21], s[6:7], v[16:17]
	v_fma_f64 v[180:181], v[20:21], s[0:1], v[16:17]
	v_add_f64 v[12:13], v[135:136], v[137:138]
	v_add_f64 v[16:17], v[30:31], v[141:142]
	;; [unrolled: 1-line block ×3, first 2 shown]
	ds_read2_b64 v[124:127], v123 offset0:176 offset1:236
	global_load_dwordx4 v[128:131], v[106:107], off offset:16
	global_load_dwordx4 v[132:135], v[106:107], off offset:48
	;; [unrolled: 1-line block ×4, first 2 shown]
	s_nop 0
	global_load_dwordx4 v[144:147], v[144:145], off offset:1568
	ds_read2_b64 v[152:155], v159 offset0:72 offset1:132
	ds_read2_b64 v[156:159], v110 offset0:96 offset1:156
	buffer_load_dword v110, off, s[36:39], 0 offset:4 ; 4-byte Folded Reload
	s_waitcnt vmcnt(10)
	v_mul_f64 v[162:163], v[98:99], v[62:63]
	s_waitcnt vmcnt(9)
	v_mul_f64 v[106:107], v[102:103], v[66:67]
	ds_read2_b64 v[148:151], v205 offset0:128 offset1:188
	s_waitcnt lgkmcnt(3)
	v_mul_f64 v[62:63], v[62:63], v[126:127]
	v_add_f64 v[26:27], v[112:113], -v[170:171]
	v_add_f64 v[24:25], v[82:83], -v[178:179]
	;; [unrolled: 1-line block ×3, first 2 shown]
	s_waitcnt lgkmcnt(0)
	v_mul_f64 v[66:67], v[66:67], v[150:151]
	v_fma_f64 v[126:127], v[60:61], v[126:127], -v[162:163]
	s_waitcnt vmcnt(8)
	v_mul_f64 v[184:185], v[94:95], v[70:71]
	v_fma_f64 v[150:151], v[64:65], v[150:151], -v[106:107]
	v_mul_f64 v[70:71], v[70:71], v[158:159]
	v_fma_f64 v[98:99], v[98:99], v[60:61], v[62:63]
	s_waitcnt vmcnt(7)
	v_mul_f64 v[106:107], v[86:87], v[74:75]
	s_waitcnt vmcnt(6)
	v_mul_f64 v[186:187], v[90:91], v[78:79]
	v_fma_f64 v[102:103], v[102:103], v[64:65], v[66:67]
	ds_read2_b64 v[162:165], v188 offset0:24 offset1:84
	v_fma_f64 v[158:159], v[68:69], v[158:159], -v[184:185]
	v_add_f64 v[60:61], v[126:127], v[150:151]
	v_mul_f64 v[62:63], v[154:155], v[74:75]
	v_fma_f64 v[68:69], v[94:95], v[68:69], v[70:71]
	v_fma_f64 v[184:185], v[72:73], v[154:155], -v[106:107]
	s_waitcnt lgkmcnt(0)
	v_fma_f64 v[186:187], v[76:77], v[164:165], -v[186:187]
	v_mul_f64 v[64:65], v[164:165], v[78:79]
	v_add_f64 v[66:67], v[98:99], v[102:103]
	v_add_f64 v[70:71], v[98:99], -v[102:103]
	v_fma_f64 v[60:61], v[60:61], -0.5, v[158:159]
	v_add_f64 v[78:79], v[104:105], v[166:167]
	v_fma_f64 v[72:73], v[86:87], v[72:73], v[62:63]
	ds_read2_b64 v[104:107], v120 offset1:180
	v_add_f64 v[94:95], v[184:185], v[186:187]
	v_fma_f64 v[76:77], v[90:91], v[76:77], v[64:65]
	v_fma_f64 v[86:87], v[66:67], -0.5, v[68:69]
	v_add_f64 v[90:91], v[126:127], -v[150:151]
	v_fma_f64 v[166:167], v[70:71], s[6:7], v[60:61]
	v_fma_f64 v[154:155], v[70:71], s[0:1], v[60:61]
	v_add_f64 v[62:63], v[112:113], v[170:171]
	v_add_f64 v[60:61], v[82:83], v[178:179]
	s_waitcnt lgkmcnt(0)
	v_fma_f64 v[94:95], v[94:95], -0.5, v[106:107]
	v_add_f64 v[112:113], v[72:73], -v[76:77]
	v_add_f64 v[34:35], v[176:177], -v[80:81]
	v_fma_f64 v[164:165], v[90:91], s[6:7], v[86:87]
	v_fma_f64 v[82:83], v[90:91], s[0:1], v[86:87]
	v_mul_f64 v[86:87], v[166:167], 0.5
	v_add_f64 v[66:67], v[172:173], v[174:175]
	v_add_f64 v[70:71], v[176:177], v[80:81]
	;; [unrolled: 1-line block ×3, first 2 shown]
	v_fma_f64 v[172:173], v[112:113], s[0:1], v[94:95]
	v_fma_f64 v[94:95], v[112:113], s[6:7], v[94:95]
	v_add_f64 v[112:113], v[158:159], v[126:127]
	v_add_f64 v[74:75], v[32:33], v[168:169]
	v_fma_f64 v[158:159], v[82:83], s[6:7], v[86:87]
	v_mul_f64 v[86:87], v[166:167], s[0:1]
	v_mul_f64 v[168:169], v[154:155], -0.5
	v_add_f64 v[106:107], v[106:107], v[184:185]
	v_fma_f64 v[80:81], v[80:81], -0.5, v[38:39]
	v_add_f64 v[126:127], v[184:185], -v[186:187]
	v_mul_f64 v[154:155], v[154:155], s[0:1]
	v_add_f64 v[28:29], v[180:181], -v[182:183]
	v_add_f64 v[64:65], v[180:181], v[182:183]
	v_fma_f64 v[174:175], v[82:83], 0.5, v[86:87]
	v_fma_f64 v[90:91], v[164:165], s[6:7], v[168:169]
	v_add_f64 v[68:69], v[68:69], v[98:99]
	v_add_f64 v[98:99], v[106:107], v[186:187]
	;; [unrolled: 1-line block ×3, first 2 shown]
	v_fma_f64 v[112:113], v[126:127], s[6:7], v[80:81]
	v_fma_f64 v[150:151], v[164:165], -0.5, v[154:155]
	v_fma_f64 v[154:155], v[126:127], s[0:1], v[80:81]
	v_add_f64 v[32:33], v[74:75], -v[78:79]
	ds_read_b64 v[190:191], v190
	v_add_f64 v[102:103], v[68:69], v[102:103]
	v_add_f64 v[68:69], v[74:75], v[78:79]
	v_add_f64 v[74:75], v[172:173], -v[90:91]
	v_add_f64 v[78:79], v[94:95], -v[158:159]
	;; [unrolled: 1-line block ×3, first 2 shown]
	s_waitcnt vmcnt(5)
	v_mul_f64 v[86:87], v[84:85], v[130:131]
	s_waitcnt vmcnt(1)
	v_mul_f64 v[126:127], v[146:147], v[148:149]
	v_mul_f64 v[146:147], v[100:101], v[146:147]
	;; [unrolled: 1-line block ×3, first 2 shown]
	s_waitcnt vmcnt(0)
	v_mul_i32_i24_e32 v110, 5, v110
	v_lshlrev_b64 v[110:111], 4, v[110:111]
	v_mul_f64 v[184:185], v[142:143], v[156:157]
	v_add_co_u32_e32 v168, vcc, s12, v110
	v_addc_co_u32_e32 v119, vcc, v119, v111, vcc
	v_add_co_u32_e32 v110, vcc, s8, v168
	v_addc_co_u32_e32 v111, vcc, 0, v119, vcc
	;; [unrolled: 2-line block ×3, first 2 shown]
	v_fma_f64 v[176:177], v[128:129], v[152:153], -v[86:87]
	v_mul_f64 v[86:87], v[138:139], v[124:125]
	v_mul_f64 v[138:139], v[96:97], v[138:139]
	global_load_dwordx4 v[164:167], v[110:111], off offset:32
	global_load_dwordx4 v[168:171], v[180:181], off offset:1568
	v_fma_f64 v[146:147], v[144:145], v[148:149], -v[146:147]
	v_fma_f64 v[100:101], v[100:101], v[144:145], v[126:127]
	global_load_dwordx4 v[142:145], v[110:111], off offset:48
	v_mul_f64 v[148:149], v[88:89], v[134:135]
	v_fma_f64 v[188:189], v[96:97], v[136:137], v[86:87]
	v_fma_f64 v[182:183], v[136:137], v[124:125], -v[138:139]
	global_load_dwordx4 v[136:139], v[110:111], off offset:16
	global_load_dwordx4 v[124:127], v[180:181], off offset:1504
	v_fma_f64 v[96:97], v[140:141], v[156:157], -v[178:179]
	v_mul_f64 v[130:131], v[152:153], v[130:131]
	v_mul_f64 v[134:135], v[162:163], v[134:135]
	v_fma_f64 v[110:111], v[132:133], v[162:163], -v[148:149]
	v_fma_f64 v[140:141], v[92:93], v[140:141], v[184:185]
	v_add_f64 v[156:157], v[182:183], v[146:147]
	v_add_f64 v[92:93], v[188:189], v[100:101]
	v_add_f64 v[152:153], v[188:189], -v[100:101]
	v_add_f64 v[86:87], v[172:173], v[90:91]
	v_add_f64 v[90:91], v[94:95], v[158:159]
	v_fma_f64 v[158:159], v[84:85], v[128:129], v[130:131]
	v_fma_f64 v[162:163], v[88:89], v[132:133], v[134:135]
	v_add_f64 v[88:89], v[182:183], -v[146:147]
	v_fma_f64 v[148:149], v[156:157], -0.5, v[96:97]
	v_add_f64 v[156:157], v[176:177], v[110:111]
	v_fma_f64 v[84:85], v[92:93], -0.5, v[140:141]
	ds_read_b64 v[92:93], v193
	v_add_f64 v[94:95], v[98:99], v[106:107]
	v_add_f64 v[96:97], v[96:97], v[182:183]
	v_add_f64 v[132:133], v[158:159], -v[162:163]
	v_add_f64 v[130:131], v[158:159], v[162:163]
	v_fma_f64 v[128:129], v[152:153], s[0:1], v[148:149]
	v_fma_f64 v[98:99], v[152:153], s[6:7], v[148:149]
	s_waitcnt lgkmcnt(0)
	v_fma_f64 v[106:107], v[156:157], -0.5, v[92:93]
	v_add_f64 v[92:93], v[92:93], v[176:177]
	v_fma_f64 v[156:157], v[88:89], s[6:7], v[84:85]
	v_fma_f64 v[172:173], v[88:89], s[0:1], v[84:85]
	v_add_f64 v[38:39], v[38:39], v[72:73]
	v_add_f64 v[72:73], v[112:113], -v[150:151]
	v_mul_f64 v[134:135], v[128:129], -0.5
	v_mul_f64 v[88:89], v[98:99], 0.5
	v_add_f64 v[84:85], v[112:113], v[150:151]
	v_fma_f64 v[112:113], v[132:133], s[0:1], v[106:107]
	v_fma_f64 v[195:196], v[132:133], s[6:7], v[106:107]
	v_add_co_u32_e32 v106, vcc, s8, v121
	v_addc_co_u32_e32 v107, vcc, 0, v122, vcc
	v_add_f64 v[176:177], v[176:177], -v[110:111]
	v_add_f64 v[110:111], v[92:93], v[110:111]
	v_add_co_u32_e32 v92, vcc, s9, v121
	v_fma_f64 v[178:179], v[130:131], -0.5, v[108:109]
	v_fma_f64 v[193:194], v[156:157], s[6:7], v[134:135]
	v_fma_f64 v[197:198], v[172:173], s[6:7], v[88:89]
	v_add_f64 v[199:200], v[96:97], v[146:147]
	v_mul_f64 v[88:89], v[128:129], s[0:1]
	v_addc_co_u32_e32 v93, vcc, 0, v122, vcc
	global_load_dwordx4 v[128:131], v[106:107], off offset:48
	global_load_dwordx4 v[132:135], v[106:107], off offset:32
	;; [unrolled: 1-line block ×4, first 2 shown]
	v_add_f64 v[38:39], v[38:39], v[76:77]
	v_add_f64 v[76:77], v[154:155], -v[174:175]
	v_fma_f64 v[201:202], v[176:177], s[6:7], v[178:179]
	v_add_f64 v[121:122], v[108:109], v[158:159]
	v_fma_f64 v[203:204], v[156:157], -0.5, v[88:89]
	v_add_f64 v[88:89], v[154:155], v[174:175]
	global_load_dwordx4 v[154:157], v[106:107], off offset:16
	v_fma_f64 v[158:159], v[176:177], s[0:1], v[178:179]
	v_add_f64 v[80:81], v[38:39], -v[102:103]
	v_add_f64 v[92:93], v[38:39], v[102:103]
	v_mul_f64 v[38:39], v[98:99], s[0:1]
	ds_read2_b64 v[176:179], v205 offset0:8 offset1:68
	v_add_u32_e32 v119, 0x1400, v120
	ds_read2_b64 v[180:183], v119 offset0:80 offset1:140
	v_add_u32_e32 v119, 0x800, v120
	v_add_f64 v[162:163], v[121:122], v[162:163]
	ds_read2_b64 v[119:122], v119 offset0:104 offset1:164
	v_add_f64 v[98:99], v[112:113], -v[193:194]
	v_fma_f64 v[38:39], v[172:173], 0.5, v[38:39]
	ds_read2_b64 v[172:175], v123 offset0:56 offset1:116
	s_waitcnt vmcnt(9)
	v_mul_f64 v[106:107], v[54:55], v[166:167]
	s_waitcnt vmcnt(8)
	v_mul_f64 v[184:185], v[58:59], v[170:171]
	s_waitcnt lgkmcnt(3)
	v_mul_f64 v[170:171], v[170:171], v[178:179]
	v_add_f64 v[112:113], v[112:113], v[193:194]
	s_waitcnt lgkmcnt(0)
	v_mul_f64 v[166:167], v[166:167], v[174:175]
	s_waitcnt vmcnt(7)
	v_mul_f64 v[207:208], v[46:47], v[144:145]
	v_add_f64 v[102:103], v[195:196], -v[197:198]
	v_add_f64 v[108:109], v[110:111], -v[199:200]
	v_fma_f64 v[174:175], v[164:165], v[174:175], -v[106:107]
	s_waitcnt vmcnt(5)
	v_mul_f64 v[106:107], v[50:51], v[126:127]
	v_fma_f64 v[178:179], v[168:169], v[178:179], -v[184:185]
	v_mul_f64 v[205:206], v[42:43], v[138:139]
	ds_read2_b64 v[184:187], v118 offset0:160 offset1:220
	v_mul_f64 v[126:127], v[126:127], v[121:122]
	v_fma_f64 v[54:55], v[54:55], v[164:165], v[166:167]
	v_fma_f64 v[58:59], v[58:59], v[168:169], v[170:171]
	v_mul_f64 v[138:139], v[182:183], v[138:139]
	v_fma_f64 v[164:165], v[124:125], v[121:122], -v[106:107]
	v_add_f64 v[106:107], v[174:175], v[178:179]
	v_add_f64 v[121:122], v[140:141], v[188:189]
	v_fma_f64 v[140:141], v[136:137], v[182:183], -v[205:206]
	s_waitcnt lgkmcnt(0)
	v_fma_f64 v[166:167], v[142:143], v[186:187], -v[207:208]
	v_mul_f64 v[144:145], v[186:187], v[144:145]
	v_fma_f64 v[50:51], v[50:51], v[124:125], v[126:127]
	v_add_f64 v[168:169], v[54:55], -v[58:59]
	v_fma_f64 v[182:183], v[42:43], v[136:137], v[138:139]
	v_fma_f64 v[125:126], v[106:107], -0.5, v[164:165]
	v_add_f64 v[170:171], v[121:122], v[100:101]
	v_add_f64 v[100:101], v[158:159], -v[38:39]
	v_add_f64 v[121:122], v[140:141], v[166:167]
	v_fma_f64 v[142:143], v[46:47], v[142:143], v[144:145]
	v_add_f64 v[123:124], v[54:55], v[58:59]
	v_add_f64 v[46:47], v[174:175], -v[178:179]
	v_add_f64 v[164:165], v[164:165], v[174:175]
	v_fma_f64 v[144:145], v[168:169], s[0:1], v[125:126]
	v_fma_f64 v[125:126], v[168:169], s[6:7], v[125:126]
	v_add_f64 v[106:107], v[162:163], -v[170:171]
	v_fma_f64 v[136:137], v[121:122], -0.5, v[190:191]
	v_add_f64 v[168:169], v[182:183], -v[142:143]
	v_add_f64 v[121:122], v[158:159], v[38:39]
	v_add_f64 v[38:39], v[182:183], v[142:143]
	v_fma_f64 v[42:43], v[123:124], -0.5, v[50:51]
	v_mul_f64 v[188:189], v[144:145], -0.5
	v_mul_f64 v[144:145], v[144:145], s[0:1]
	v_add_f64 v[50:51], v[50:51], v[54:55]
	v_add_f64 v[123:124], v[195:196], v[197:198]
	v_fma_f64 v[158:159], v[168:169], s[0:1], v[136:137]
	v_fma_f64 v[168:169], v[168:169], s[6:7], v[136:137]
	v_add_f64 v[136:137], v[162:163], v[170:171]
	v_add_f64 v[162:163], v[190:191], v[140:141]
	v_add_f64 v[140:141], v[140:141], -v[166:167]
	v_fma_f64 v[38:39], v[38:39], -0.5, v[114:115]
	v_fma_f64 v[186:187], v[46:47], s[6:7], v[42:43]
	v_fma_f64 v[193:194], v[46:47], s[0:1], v[42:43]
	v_mul_f64 v[42:43], v[125:126], 0.5
	v_add_f64 v[114:115], v[114:115], v[182:183]
	v_add_f64 v[164:165], v[164:165], v[178:179]
	s_waitcnt vmcnt(3)
	v_mul_f64 v[170:171], v[52:53], v[134:135]
	v_add_f64 v[162:163], v[162:163], v[166:167]
	s_waitcnt vmcnt(1)
	v_mul_f64 v[166:167], v[56:57], v[152:153]
	v_mul_f64 v[134:135], v[134:135], v[172:173]
	;; [unrolled: 1-line block ×3, first 2 shown]
	v_fma_f64 v[174:175], v[140:141], s[6:7], v[38:39]
	v_fma_f64 v[38:39], v[140:141], s[0:1], v[38:39]
	v_fma_f64 v[144:145], v[186:187], -0.5, v[144:145]
	v_fma_f64 v[170:171], v[132:133], v[172:173], -v[170:171]
	v_mul_f64 v[172:173], v[48:49], v[148:149]
	v_fma_f64 v[166:167], v[150:151], v[176:177], -v[166:167]
	s_waitcnt vmcnt(0)
	v_mul_f64 v[140:141], v[40:41], v[156:157]
	v_mul_f64 v[176:177], v[44:45], v[130:131]
	;; [unrolled: 1-line block ×3, first 2 shown]
	v_fma_f64 v[133:134], v[52:53], v[132:133], v[134:135]
	v_fma_f64 v[150:151], v[56:57], v[150:151], v[152:153]
	v_mul_f64 v[56:57], v[125:126], s[0:1]
	v_fma_f64 v[118:119], v[146:147], v[119:120], -v[172:173]
	v_add_f64 v[52:53], v[170:171], v[166:167]
	v_mul_f64 v[125:126], v[180:181], v[156:157]
	v_mul_f64 v[130:131], v[184:185], v[130:131]
	v_fma_f64 v[140:141], v[154:155], v[180:181], -v[140:141]
	v_fma_f64 v[152:153], v[128:129], v[184:185], -v[176:177]
	v_fma_f64 v[146:147], v[48:49], v[146:147], v[148:149]
	v_add_f64 v[48:49], v[133:134], v[150:151]
	v_add_f64 v[148:149], v[133:134], -v[150:151]
	v_fma_f64 v[52:53], v[52:53], -0.5, v[118:119]
	v_fma_f64 v[154:155], v[40:41], v[154:155], v[125:126]
	v_fma_f64 v[129:130], v[44:45], v[128:129], v[130:131]
	v_fma_f64 v[56:57], v[193:194], 0.5, v[56:57]
	v_add_f64 v[54:55], v[140:141], v[152:153]
	v_add_f64 v[156:157], v[170:171], -v[166:167]
	v_fma_f64 v[131:132], v[48:49], -0.5, v[146:147]
	v_add_f64 v[114:115], v[114:115], v[142:143]
	v_fma_f64 v[172:173], v[148:149], s[0:1], v[52:53]
	v_add_f64 v[125:126], v[50:51], v[58:59]
	v_fma_f64 v[148:149], v[148:149], s[6:7], v[52:53]
	v_add_f64 v[44:45], v[38:39], -v[56:57]
	v_add_f64 v[56:57], v[38:39], v[56:57]
	v_add_f64 v[38:39], v[154:155], v[129:130]
	v_fma_f64 v[188:189], v[186:187], s[6:7], v[188:189]
	v_fma_f64 v[195:196], v[193:194], s[6:7], v[42:43]
	v_fma_f64 v[142:143], v[54:55], -0.5, v[104:105]
	v_add_f64 v[176:177], v[154:155], -v[129:130]
	v_fma_f64 v[178:179], v[156:157], s[6:7], v[131:132]
	v_mul_f64 v[127:128], v[172:173], -0.5
	v_add_f64 v[40:41], v[174:175], -v[144:145]
	v_add_f64 v[48:49], v[114:115], -v[125:126]
	v_add_f64 v[52:53], v[174:175], v[144:145]
	v_add_f64 v[125:126], v[114:115], v[125:126]
	v_fma_f64 v[114:115], v[156:157], s[0:1], v[131:132]
	v_mul_f64 v[144:145], v[148:149], 0.5
	v_add_f64 v[104:105], v[104:105], v[140:141]
	v_fma_f64 v[38:39], v[38:39], -0.5, v[36:37]
	v_add_f64 v[140:141], v[140:141], -v[152:153]
	v_add_f64 v[118:119], v[118:119], v[170:171]
	v_add_f64 v[42:43], v[158:159], -v[188:189]
	v_add_f64 v[46:47], v[168:169], -v[195:196]
	;; [unrolled: 1-line block ×3, first 2 shown]
	v_add_f64 v[54:55], v[158:159], v[188:189]
	v_add_f64 v[58:59], v[168:169], v[195:196]
	v_fma_f64 v[158:159], v[176:177], s[0:1], v[142:143]
	v_fma_f64 v[168:169], v[178:179], s[6:7], v[127:128]
	v_add_f64 v[127:128], v[162:163], v[164:165]
	v_fma_f64 v[156:157], v[176:177], s[6:7], v[142:143]
	v_mul_f64 v[142:143], v[172:173], s[0:1]
	v_fma_f64 v[162:163], v[114:115], s[6:7], v[144:145]
	v_mul_f64 v[144:145], v[148:149], s[0:1]
	v_add_f64 v[36:37], v[36:37], v[154:155]
	v_add_f64 v[133:134], v[146:147], v[133:134]
	v_fma_f64 v[148:149], v[140:141], s[6:7], v[38:39]
	v_fma_f64 v[38:39], v[140:141], s[0:1], v[38:39]
	v_lshrrev_b32_e32 v120, 3, v192
	s_mov_b32 s0, 0x16c16c17
	v_mul_hi_u32 v120, v120, s0
	v_add_f64 v[104:105], v[104:105], v[152:153]
	v_add_f64 v[118:119], v[118:119], v[166:167]
	v_fma_f64 v[152:153], v[178:179], -0.5, v[142:143]
	v_lshrrev_b32_e32 v120, 2, v120
	v_mul_u32_u24_e32 v120, 0x168, v120
	v_sub_u32_e32 v120, v192, v120
	v_fma_f64 v[114:115], v[114:115], 0.5, v[144:145]
	v_add_f64 v[36:37], v[36:37], v[129:130]
	v_add_f64 v[133:134], v[133:134], v[150:151]
	v_mad_u64_u32 v[164:165], s[4:5], s2, v120, 0
	v_add_f64 v[131:132], v[158:159], -v[168:169]
	v_add_f64 v[146:147], v[104:105], -v[118:119]
	v_add_f64 v[150:151], v[158:159], v[168:169]
	v_add_f64 v[158:159], v[104:105], v[118:119]
	v_mov_b32_e32 v104, v165
	v_mad_u64_u32 v[104:105], s[4:5], s3, v120, v[104:105]
	v_add_f64 v[142:143], v[156:157], -v[162:163]
	v_add_f64 v[129:130], v[148:149], -v[152:153]
	v_add_f64 v[140:141], v[38:39], -v[114:115]
	v_add_f64 v[144:145], v[36:37], -v[133:134]
	v_add_f64 v[154:155], v[156:157], v[162:163]
	v_add_f64 v[148:149], v[148:149], v[152:153]
	;; [unrolled: 1-line block ×4, first 2 shown]
	v_lshlrev_b64 v[36:37], 4, v[116:117]
	v_add_u32_e32 v114, 0x168, v120
	v_mov_b32_e32 v165, v104
	v_mad_u64_u32 v[104:105], s[4:5], s2, v114, 0
	v_mov_b32_e32 v38, s11
	v_add_co_u32_e32 v39, vcc, s10, v36
	v_addc_co_u32_e32 v38, vcc, v38, v37, vcc
	v_lshlrev_b64 v[36:37], 4, v[160:161]
	v_mad_u64_u32 v[114:115], s[4:5], s3, v114, v[105:106]
	v_add_co_u32_e32 v36, vcc, v39, v36
	v_add_u32_e32 v117, 0x2d0, v120
	v_addc_co_u32_e32 v37, vcc, v38, v37, vcc
	v_lshlrev_b64 v[38:39], 4, v[164:165]
	v_mad_u64_u32 v[115:116], s[4:5], s2, v117, 0
	v_add_co_u32_e32 v38, vcc, v36, v38
	v_addc_co_u32_e32 v39, vcc, v37, v39, vcc
	v_mov_b32_e32 v105, v114
	global_store_dwordx4 v[38:39], v[156:159], off
	v_lshlrev_b64 v[38:39], 4, v[104:105]
	v_mov_b32_e32 v104, v116
	v_mad_u64_u32 v[104:105], s[4:5], s3, v117, v[104:105]
	v_add_u32_e32 v114, 0x438, v120
	v_add_co_u32_e32 v38, vcc, v36, v38
	v_mov_b32_e32 v116, v104
	v_mad_u64_u32 v[104:105], s[4:5], s2, v114, 0
	v_addc_co_u32_e32 v39, vcc, v37, v39, vcc
	global_store_dwordx4 v[38:39], v[152:155], off
	v_lshlrev_b64 v[38:39], 4, v[115:116]
	v_mad_u64_u32 v[114:115], s[4:5], s3, v114, v[105:106]
	v_add_u32_e32 v117, 0x5a0, v120
	v_mad_u64_u32 v[115:116], s[4:5], s2, v117, 0
	v_add_co_u32_e32 v38, vcc, v36, v38
	v_addc_co_u32_e32 v39, vcc, v37, v39, vcc
	v_mov_b32_e32 v105, v114
	global_store_dwordx4 v[38:39], v[148:151], off
	v_lshlrev_b64 v[38:39], 4, v[104:105]
	v_mov_b32_e32 v104, v116
	v_mad_u64_u32 v[104:105], s[4:5], s3, v117, v[104:105]
	v_add_co_u32_e32 v38, vcc, v36, v38
	v_addc_co_u32_e32 v39, vcc, v37, v39, vcc
	v_mov_b32_e32 v116, v104
	global_store_dwordx4 v[38:39], v[144:147], off
	v_lshlrev_b64 v[38:39], 4, v[115:116]
	v_add_u32_e32 v116, 60, v192
	v_add_u32_e32 v114, 0x708, v120
	v_lshrrev_b32_e32 v115, 3, v116
	v_mad_u64_u32 v[104:105], s[4:5], s2, v114, 0
	v_mul_hi_u32 v117, v115, s0
	s_movk_i32 s1, 0x870
	v_mad_u64_u32 v[114:115], s[4:5], s3, v114, v[105:106]
	v_lshrrev_b32_e32 v105, 2, v117
	v_mul_u32_u24_e32 v115, 0x168, v105
	v_sub_u32_e32 v115, v116, v115
	v_mad_u32_u24 v117, v105, s1, v115
	v_mad_u64_u32 v[115:116], s[4:5], s2, v117, 0
	v_add_co_u32_e32 v38, vcc, v36, v38
	v_addc_co_u32_e32 v39, vcc, v37, v39, vcc
	v_mov_b32_e32 v105, v114
	global_store_dwordx4 v[38:39], v[140:143], off
	v_lshlrev_b64 v[38:39], 4, v[104:105]
	v_mov_b32_e32 v104, v116
	v_mad_u64_u32 v[104:105], s[4:5], s3, v117, v[104:105]
	v_add_u32_e32 v114, 0x168, v117
	v_add_co_u32_e32 v38, vcc, v36, v38
	v_mov_b32_e32 v116, v104
	v_mad_u64_u32 v[104:105], s[4:5], s2, v114, 0
	v_addc_co_u32_e32 v39, vcc, v37, v39, vcc
	global_store_dwordx4 v[38:39], v[129:132], off
	v_lshlrev_b64 v[38:39], 4, v[115:116]
	v_mad_u64_u32 v[114:115], s[4:5], s3, v114, v[105:106]
	v_add_co_u32_e32 v38, vcc, v36, v38
	v_addc_co_u32_e32 v39, vcc, v37, v39, vcc
	v_add_u32_e32 v118, 0x2d0, v117
	v_mov_b32_e32 v105, v114
	v_mad_u64_u32 v[115:116], s[4:5], s2, v118, 0
	global_store_dwordx4 v[38:39], v[125:128], off
	v_lshlrev_b64 v[38:39], 4, v[104:105]
	v_mov_b32_e32 v104, v116
	v_add_co_u32_e32 v38, vcc, v36, v38
	v_addc_co_u32_e32 v39, vcc, v37, v39, vcc
	global_store_dwordx4 v[38:39], v[56:59], off
	v_mad_u64_u32 v[104:105], s[4:5], s3, v118, v[104:105]
	v_add_u32_e32 v58, 0x438, v117
	v_mad_u64_u32 v[56:57], s[4:5], s2, v58, 0
	v_mov_b32_e32 v116, v104
	v_add_u32_e32 v104, 0x5a0, v117
	v_mad_u64_u32 v[57:58], s[4:5], s3, v58, v[57:58]
	v_lshlrev_b64 v[38:39], 4, v[115:116]
	v_mad_u64_u32 v[58:59], s[4:5], s2, v104, 0
	v_add_co_u32_e32 v38, vcc, v36, v38
	v_addc_co_u32_e32 v39, vcc, v37, v39, vcc
	global_store_dwordx4 v[38:39], v[52:55], off
	v_lshlrev_b64 v[38:39], 4, v[56:57]
	v_mov_b32_e32 v52, v59
	v_mad_u64_u32 v[52:53], s[4:5], s3, v104, v[52:53]
	v_add_co_u32_e32 v38, vcc, v36, v38
	v_addc_co_u32_e32 v39, vcc, v37, v39, vcc
	global_store_dwordx4 v[38:39], v[48:51], off
	v_mov_b32_e32 v59, v52
	v_add_u32_e32 v50, 0x708, v117
	v_add_u32_e32 v51, 0x78, v192
	v_mad_u64_u32 v[48:49], s[4:5], s2, v50, 0
	v_lshrrev_b32_e32 v52, 3, v51
	v_mul_hi_u32 v52, v52, s0
	v_mad_u64_u32 v[49:50], s[4:5], s3, v50, v[49:50]
	v_lshlrev_b64 v[38:39], 4, v[58:59]
	v_lshrrev_b32_e32 v50, 2, v52
	v_mul_u32_u24_e32 v52, 0x168, v50
	v_add_co_u32_e32 v38, vcc, v36, v38
	v_sub_u32_e32 v51, v51, v52
	v_addc_co_u32_e32 v39, vcc, v37, v39, vcc
	v_mad_u32_u24 v52, v50, s1, v51
	v_mad_u64_u32 v[50:51], s[4:5], s2, v52, 0
	global_store_dwordx4 v[38:39], v[44:47], off
	v_lshlrev_b64 v[38:39], 4, v[48:49]
	v_mov_b32_e32 v44, v51
	v_add_co_u32_e32 v38, vcc, v36, v38
	v_addc_co_u32_e32 v39, vcc, v37, v39, vcc
	global_store_dwordx4 v[38:39], v[40:43], off
	v_mad_u64_u32 v[44:45], s[4:5], s3, v52, v[44:45]
	v_add_u32_e32 v42, 0x168, v52
	v_mad_u64_u32 v[40:41], s[4:5], s2, v42, 0
	v_add_f64 v[138:139], v[110:111], v[199:200]
	v_mov_b32_e32 v51, v44
	v_mad_u64_u32 v[41:42], s[4:5], s3, v42, v[41:42]
	v_add_u32_e32 v44, 0x2d0, v52
	v_lshlrev_b64 v[38:39], 4, v[50:51]
	v_mad_u64_u32 v[42:43], s[4:5], s2, v44, 0
	v_add_co_u32_e32 v38, vcc, v36, v38
	v_addc_co_u32_e32 v39, vcc, v37, v39, vcc
	global_store_dwordx4 v[38:39], v[136:139], off
	v_lshlrev_b64 v[38:39], 4, v[40:41]
	v_mov_b32_e32 v40, v43
	v_mad_u64_u32 v[40:41], s[4:5], s3, v44, v[40:41]
	v_add_co_u32_e32 v38, vcc, v36, v38
	v_addc_co_u32_e32 v39, vcc, v37, v39, vcc
	v_mov_b32_e32 v43, v40
	global_store_dwordx4 v[38:39], v[121:124], off
	v_lshlrev_b64 v[38:39], 4, v[42:43]
	v_add_u32_e32 v42, 0x438, v52
	v_mad_u64_u32 v[40:41], s[4:5], s2, v42, 0
	v_add_f64 v[110:111], v[201:202], v[203:204]
	v_add_u32_e32 v44, 0x5a0, v52
	v_mad_u64_u32 v[41:42], s[4:5], s3, v42, v[41:42]
	v_mad_u64_u32 v[42:43], s[4:5], s2, v44, 0
	v_add_co_u32_e32 v38, vcc, v36, v38
	v_addc_co_u32_e32 v39, vcc, v37, v39, vcc
	global_store_dwordx4 v[38:39], v[110:113], off
	v_lshlrev_b64 v[38:39], 4, v[40:41]
	v_mov_b32_e32 v40, v43
	v_mad_u64_u32 v[40:41], s[4:5], s3, v44, v[40:41]
	v_add_co_u32_e32 v38, vcc, v36, v38
	v_addc_co_u32_e32 v39, vcc, v37, v39, vcc
	v_mov_b32_e32 v43, v40
	global_store_dwordx4 v[38:39], v[106:109], off
	v_lshlrev_b64 v[38:39], 4, v[42:43]
	v_add_u32_e32 v42, 0x708, v52
	v_add_u32_e32 v43, 0xb4, v192
	v_mad_u64_u32 v[40:41], s[4:5], s2, v42, 0
	v_lshrrev_b32_e32 v44, 3, v43
	v_mul_hi_u32 v44, v44, s0
	v_mad_u64_u32 v[41:42], s[4:5], s3, v42, v[41:42]
	v_add_f64 v[96:97], v[201:202], -v[203:204]
	v_lshrrev_b32_e32 v42, 2, v44
	v_mul_u32_u24_e32 v44, 0x168, v42
	v_sub_u32_e32 v43, v43, v44
	v_mad_u32_u24 v44, v42, s1, v43
	v_mad_u64_u32 v[42:43], s[4:5], s2, v44, 0
	v_add_co_u32_e32 v38, vcc, v36, v38
	v_addc_co_u32_e32 v39, vcc, v37, v39, vcc
	global_store_dwordx4 v[38:39], v[100:103], off
	v_lshlrev_b64 v[38:39], 4, v[40:41]
	v_mov_b32_e32 v40, v43
	v_mad_u64_u32 v[40:41], s[4:5], s3, v44, v[40:41]
	v_add_co_u32_e32 v38, vcc, v36, v38
	v_addc_co_u32_e32 v39, vcc, v37, v39, vcc
	v_mov_b32_e32 v43, v40
	global_store_dwordx4 v[38:39], v[96:99], off
	v_lshlrev_b64 v[38:39], 4, v[42:43]
	v_add_u32_e32 v42, 0x168, v44
	v_mad_u64_u32 v[40:41], s[4:5], s2, v42, 0
	v_add_u32_e32 v45, 0x2d0, v44
	v_add_co_u32_e32 v38, vcc, v36, v38
	v_mad_u64_u32 v[41:42], s[4:5], s3, v42, v[41:42]
	v_mad_u64_u32 v[42:43], s[4:5], s2, v45, 0
	v_addc_co_u32_e32 v39, vcc, v37, v39, vcc
	global_store_dwordx4 v[38:39], v[92:95], off
	v_lshlrev_b64 v[38:39], 4, v[40:41]
	v_mov_b32_e32 v40, v43
	v_mad_u64_u32 v[40:41], s[4:5], s3, v45, v[40:41]
	v_add_co_u32_e32 v38, vcc, v36, v38
	v_addc_co_u32_e32 v39, vcc, v37, v39, vcc
	v_mov_b32_e32 v43, v40
	global_store_dwordx4 v[38:39], v[88:91], off
	v_lshlrev_b64 v[38:39], 4, v[42:43]
	v_add_u32_e32 v42, 0x438, v44
	v_mad_u64_u32 v[40:41], s[4:5], s2, v42, 0
	v_add_u32_e32 v45, 0x5a0, v44
	v_add_co_u32_e32 v38, vcc, v36, v38
	v_mad_u64_u32 v[41:42], s[4:5], s3, v42, v[41:42]
	v_mad_u64_u32 v[42:43], s[4:5], s2, v45, 0
	v_addc_co_u32_e32 v39, vcc, v37, v39, vcc
	global_store_dwordx4 v[38:39], v[84:87], off
	v_lshlrev_b64 v[38:39], 4, v[40:41]
	v_mov_b32_e32 v40, v43
	v_mad_u64_u32 v[40:41], s[4:5], s3, v45, v[40:41]
	v_add_co_u32_e32 v38, vcc, v36, v38
	v_addc_co_u32_e32 v39, vcc, v37, v39, vcc
	v_mov_b32_e32 v43, v40
	global_store_dwordx4 v[38:39], v[80:83], off
	v_lshlrev_b64 v[38:39], 4, v[42:43]
	v_add_u32_e32 v42, 0x708, v44
	v_add_u32_e32 v43, 0xf0, v192
	v_mad_u64_u32 v[40:41], s[4:5], s2, v42, 0
	v_lshrrev_b32_e32 v44, 3, v43
	v_mul_hi_u32 v44, v44, s0
	v_mad_u64_u32 v[41:42], s[4:5], s3, v42, v[41:42]
	v_add_co_u32_e32 v38, vcc, v36, v38
	v_lshrrev_b32_e32 v42, 2, v44
	v_mul_u32_u24_e32 v44, 0x168, v42
	v_sub_u32_e32 v43, v43, v44
	v_mad_u32_u24 v44, v42, s1, v43
	v_mad_u64_u32 v[42:43], s[4:5], s2, v44, 0
	v_addc_co_u32_e32 v39, vcc, v37, v39, vcc
	global_store_dwordx4 v[38:39], v[76:79], off
	v_lshlrev_b64 v[38:39], 4, v[40:41]
	v_mov_b32_e32 v40, v43
	v_mad_u64_u32 v[40:41], s[4:5], s3, v44, v[40:41]
	v_add_co_u32_e32 v38, vcc, v36, v38
	v_addc_co_u32_e32 v39, vcc, v37, v39, vcc
	v_mov_b32_e32 v43, v40
	global_store_dwordx4 v[38:39], v[72:75], off
	v_lshlrev_b64 v[38:39], 4, v[42:43]
	v_add_u32_e32 v42, 0x168, v44
	v_mad_u64_u32 v[40:41], s[4:5], s2, v42, 0
	v_add_u32_e32 v45, 0x2d0, v44
	v_add_co_u32_e32 v38, vcc, v36, v38
	v_mad_u64_u32 v[41:42], s[4:5], s3, v42, v[41:42]
	v_mad_u64_u32 v[42:43], s[4:5], s2, v45, 0
	v_addc_co_u32_e32 v39, vcc, v37, v39, vcc
	global_store_dwordx4 v[38:39], v[68:71], off
	v_lshlrev_b64 v[38:39], 4, v[40:41]
	v_mov_b32_e32 v40, v43
	v_mad_u64_u32 v[40:41], s[4:5], s3, v45, v[40:41]
	v_add_co_u32_e32 v38, vcc, v36, v38
	v_addc_co_u32_e32 v39, vcc, v37, v39, vcc
	v_mov_b32_e32 v43, v40
	global_store_dwordx4 v[38:39], v[64:67], off
	v_lshlrev_b64 v[38:39], 4, v[42:43]
	v_add_u32_e32 v42, 0x438, v44
	v_mad_u64_u32 v[40:41], s[4:5], s2, v42, 0
	v_add_co_u32_e32 v38, vcc, v36, v38
	v_mad_u64_u32 v[41:42], s[4:5], s3, v42, v[41:42]
	v_addc_co_u32_e32 v39, vcc, v37, v39, vcc
	global_store_dwordx4 v[38:39], v[60:63], off
	v_lshlrev_b64 v[38:39], 4, v[40:41]
	v_add_u32_e32 v45, 0x5a0, v44
	v_mad_u64_u32 v[42:43], s[4:5], s2, v45, 0
	v_add_co_u32_e32 v38, vcc, v36, v38
	v_addc_co_u32_e32 v39, vcc, v37, v39, vcc
	global_store_dwordx4 v[38:39], v[32:35], off
	v_add_u32_e32 v38, 0x708, v44
	v_mad_u64_u32 v[34:35], s[4:5], s2, v38, 0
	v_mov_b32_e32 v40, v43
	v_mad_u64_u32 v[40:41], s[4:5], s3, v45, v[40:41]
	v_mad_u64_u32 v[38:39], s[4:5], s3, v38, v[35:36]
	v_add_u32_e32 v39, 0x12c, v192
	v_mov_b32_e32 v43, v40
	v_lshrrev_b32_e32 v35, 3, v39
	v_lshlrev_b64 v[32:33], 4, v[42:43]
	v_mul_hi_u32 v40, v35, s0
	v_add_co_u32_e32 v32, vcc, v36, v32
	v_addc_co_u32_e32 v33, vcc, v37, v33, vcc
	global_store_dwordx4 v[32:33], v[28:31], off
	v_mov_b32_e32 v35, v38
	v_lshrrev_b32_e32 v30, 2, v40
	v_mul_u32_u24_e32 v31, 0x168, v30
	v_sub_u32_e32 v31, v39, v31
	v_lshlrev_b64 v[28:29], 4, v[34:35]
	v_mad_u32_u24 v34, v30, s1, v31
	v_mad_u64_u32 v[30:31], s[0:1], s2, v34, 0
	v_add_co_u32_e32 v28, vcc, v36, v28
	v_mad_u64_u32 v[31:32], s[0:1], s3, v34, v[31:32]
	v_add_u32_e32 v35, 0x168, v34
	v_addc_co_u32_e32 v29, vcc, v37, v29, vcc
	v_mad_u64_u32 v[32:33], s[0:1], s2, v35, 0
	global_store_dwordx4 v[28:29], v[24:27], off
	s_nop 0
	v_lshlrev_b64 v[24:25], 4, v[30:31]
	v_mov_b32_e32 v26, v33
	v_add_co_u32_e32 v24, vcc, v36, v24
	v_addc_co_u32_e32 v25, vcc, v37, v25, vcc
	v_mad_u64_u32 v[26:27], s[0:1], s3, v35, v[26:27]
	global_store_dwordx4 v[24:25], v[20:23], off
	v_add_u32_e32 v24, 0x2d0, v34
	v_mad_u64_u32 v[22:23], s[0:1], s2, v24, 0
	v_mov_b32_e32 v33, v26
	v_lshlrev_b64 v[20:21], 4, v[32:33]
	v_mad_u64_u32 v[23:24], s[0:1], s3, v24, v[23:24]
	v_add_co_u32_e32 v20, vcc, v36, v20
	v_addc_co_u32_e32 v21, vcc, v37, v21, vcc
	v_add_u32_e32 v26, 0x438, v34
	v_mad_u64_u32 v[24:25], s[0:1], s2, v26, 0
	global_store_dwordx4 v[20:21], v[16:19], off
	s_nop 0
	v_lshlrev_b64 v[16:17], 4, v[22:23]
	v_mov_b32_e32 v18, v25
	v_add_co_u32_e32 v16, vcc, v36, v16
	v_addc_co_u32_e32 v17, vcc, v37, v17, vcc
	global_store_dwordx4 v[16:17], v[12:15], off
	v_add_u32_e32 v16, 0x5a0, v34
	v_mad_u64_u32 v[18:19], s[0:1], s3, v26, v[18:19]
	v_mad_u64_u32 v[14:15], s[0:1], s2, v16, 0
	v_mov_b32_e32 v25, v18
	v_add_u32_e32 v18, 0x708, v34
	v_mad_u64_u32 v[15:16], s[0:1], s3, v16, v[15:16]
	v_lshlrev_b64 v[12:13], 4, v[24:25]
	v_mad_u64_u32 v[16:17], s[0:1], s2, v18, 0
	v_add_co_u32_e32 v12, vcc, v36, v12
	v_addc_co_u32_e32 v13, vcc, v37, v13, vcc
	global_store_dwordx4 v[12:13], v[8:11], off
	s_nop 0
	v_mov_b32_e32 v10, v17
	v_mad_u64_u32 v[10:11], s[0:1], s3, v18, v[10:11]
	v_lshlrev_b64 v[8:9], 4, v[14:15]
	v_add_co_u32_e32 v8, vcc, v36, v8
	v_addc_co_u32_e32 v9, vcc, v37, v9, vcc
	v_mov_b32_e32 v17, v10
	global_store_dwordx4 v[8:9], v[4:7], off
	s_nop 0
	v_lshlrev_b64 v[4:5], 4, v[16:17]
	v_add_co_u32_e32 v4, vcc, v36, v4
	v_addc_co_u32_e32 v5, vcc, v37, v5, vcc
	global_store_dwordx4 v[4:5], v[0:3], off
.LBB0_21:
	s_endpgm
	.section	.rodata,"a",@progbits
	.p2align	6, 0x0
	.amdhsa_kernel fft_rtc_back_len2160_factors_10_6_6_6_wgs_60_tpt_60_halfLds_dp_op_CI_CI_sbrr_dirReg
		.amdhsa_group_segment_fixed_size 0
		.amdhsa_private_segment_fixed_size 12
		.amdhsa_kernarg_size 104
		.amdhsa_user_sgpr_count 6
		.amdhsa_user_sgpr_private_segment_buffer 1
		.amdhsa_user_sgpr_dispatch_ptr 0
		.amdhsa_user_sgpr_queue_ptr 0
		.amdhsa_user_sgpr_kernarg_segment_ptr 1
		.amdhsa_user_sgpr_dispatch_id 0
		.amdhsa_user_sgpr_flat_scratch_init 0
		.amdhsa_user_sgpr_private_segment_size 0
		.amdhsa_uses_dynamic_stack 0
		.amdhsa_system_sgpr_private_segment_wavefront_offset 1
		.amdhsa_system_sgpr_workgroup_id_x 1
		.amdhsa_system_sgpr_workgroup_id_y 0
		.amdhsa_system_sgpr_workgroup_id_z 0
		.amdhsa_system_sgpr_workgroup_info 0
		.amdhsa_system_vgpr_workitem_id 0
		.amdhsa_next_free_vgpr 256
		.amdhsa_next_free_sgpr 40
		.amdhsa_reserve_vcc 1
		.amdhsa_reserve_flat_scratch 0
		.amdhsa_float_round_mode_32 0
		.amdhsa_float_round_mode_16_64 0
		.amdhsa_float_denorm_mode_32 3
		.amdhsa_float_denorm_mode_16_64 3
		.amdhsa_dx10_clamp 1
		.amdhsa_ieee_mode 1
		.amdhsa_fp16_overflow 0
		.amdhsa_exception_fp_ieee_invalid_op 0
		.amdhsa_exception_fp_denorm_src 0
		.amdhsa_exception_fp_ieee_div_zero 0
		.amdhsa_exception_fp_ieee_overflow 0
		.amdhsa_exception_fp_ieee_underflow 0
		.amdhsa_exception_fp_ieee_inexact 0
		.amdhsa_exception_int_div_zero 0
	.end_amdhsa_kernel
	.text
.Lfunc_end0:
	.size	fft_rtc_back_len2160_factors_10_6_6_6_wgs_60_tpt_60_halfLds_dp_op_CI_CI_sbrr_dirReg, .Lfunc_end0-fft_rtc_back_len2160_factors_10_6_6_6_wgs_60_tpt_60_halfLds_dp_op_CI_CI_sbrr_dirReg
                                        ; -- End function
	.section	.AMDGPU.csdata,"",@progbits
; Kernel info:
; codeLenInByte = 24912
; NumSgprs: 44
; NumVgprs: 256
; ScratchSize: 12
; MemoryBound: 1
; FloatMode: 240
; IeeeMode: 1
; LDSByteSize: 0 bytes/workgroup (compile time only)
; SGPRBlocks: 5
; VGPRBlocks: 63
; NumSGPRsForWavesPerEU: 44
; NumVGPRsForWavesPerEU: 256
; Occupancy: 1
; WaveLimiterHint : 1
; COMPUTE_PGM_RSRC2:SCRATCH_EN: 1
; COMPUTE_PGM_RSRC2:USER_SGPR: 6
; COMPUTE_PGM_RSRC2:TRAP_HANDLER: 0
; COMPUTE_PGM_RSRC2:TGID_X_EN: 1
; COMPUTE_PGM_RSRC2:TGID_Y_EN: 0
; COMPUTE_PGM_RSRC2:TGID_Z_EN: 0
; COMPUTE_PGM_RSRC2:TIDIG_COMP_CNT: 0
	.type	__hip_cuid_e57893032f0224dc,@object ; @__hip_cuid_e57893032f0224dc
	.section	.bss,"aw",@nobits
	.globl	__hip_cuid_e57893032f0224dc
__hip_cuid_e57893032f0224dc:
	.byte	0                               ; 0x0
	.size	__hip_cuid_e57893032f0224dc, 1

	.ident	"AMD clang version 19.0.0git (https://github.com/RadeonOpenCompute/llvm-project roc-6.4.0 25133 c7fe45cf4b819c5991fe208aaa96edf142730f1d)"
	.section	".note.GNU-stack","",@progbits
	.addrsig
	.addrsig_sym __hip_cuid_e57893032f0224dc
	.amdgpu_metadata
---
amdhsa.kernels:
  - .args:
      - .actual_access:  read_only
        .address_space:  global
        .offset:         0
        .size:           8
        .value_kind:     global_buffer
      - .offset:         8
        .size:           8
        .value_kind:     by_value
      - .actual_access:  read_only
        .address_space:  global
        .offset:         16
        .size:           8
        .value_kind:     global_buffer
      - .actual_access:  read_only
        .address_space:  global
        .offset:         24
        .size:           8
        .value_kind:     global_buffer
      - .actual_access:  read_only
        .address_space:  global
        .offset:         32
        .size:           8
        .value_kind:     global_buffer
      - .offset:         40
        .size:           8
        .value_kind:     by_value
      - .actual_access:  read_only
        .address_space:  global
        .offset:         48
        .size:           8
        .value_kind:     global_buffer
      - .actual_access:  read_only
        .address_space:  global
        .offset:         56
        .size:           8
        .value_kind:     global_buffer
      - .offset:         64
        .size:           4
        .value_kind:     by_value
      - .actual_access:  read_only
        .address_space:  global
        .offset:         72
        .size:           8
        .value_kind:     global_buffer
      - .actual_access:  read_only
        .address_space:  global
        .offset:         80
        .size:           8
        .value_kind:     global_buffer
      - .actual_access:  read_only
        .address_space:  global
        .offset:         88
        .size:           8
        .value_kind:     global_buffer
      - .actual_access:  write_only
        .address_space:  global
        .offset:         96
        .size:           8
        .value_kind:     global_buffer
    .group_segment_fixed_size: 0
    .kernarg_segment_align: 8
    .kernarg_segment_size: 104
    .language:       OpenCL C
    .language_version:
      - 2
      - 0
    .max_flat_workgroup_size: 60
    .name:           fft_rtc_back_len2160_factors_10_6_6_6_wgs_60_tpt_60_halfLds_dp_op_CI_CI_sbrr_dirReg
    .private_segment_fixed_size: 12
    .sgpr_count:     44
    .sgpr_spill_count: 0
    .symbol:         fft_rtc_back_len2160_factors_10_6_6_6_wgs_60_tpt_60_halfLds_dp_op_CI_CI_sbrr_dirReg.kd
    .uniform_work_group_size: 1
    .uses_dynamic_stack: false
    .vgpr_count:     256
    .vgpr_spill_count: 2
    .wavefront_size: 64
amdhsa.target:   amdgcn-amd-amdhsa--gfx906
amdhsa.version:
  - 1
  - 2
...

	.end_amdgpu_metadata
